;; amdgpu-corpus repo=pytorch/pytorch kind=compiled arch=gfx1100 opt=O3
	.text
	.amdgcn_target "amdgcn-amd-amdhsa--gfx1100"
	.amdhsa_code_object_version 6
	.section	.text._ZN2at6native12_GLOBAL__N_116_elemwise_kernelILi256ELi4EZNS1_43_compute_linear_combination_internal_kernelIhEEvRNS_14TensorIteratorEiiiEUliE_EEviT1_,"axG",@progbits,_ZN2at6native12_GLOBAL__N_116_elemwise_kernelILi256ELi4EZNS1_43_compute_linear_combination_internal_kernelIhEEvRNS_14TensorIteratorEiiiEUliE_EEviT1_,comdat
	.globl	_ZN2at6native12_GLOBAL__N_116_elemwise_kernelILi256ELi4EZNS1_43_compute_linear_combination_internal_kernelIhEEvRNS_14TensorIteratorEiiiEUliE_EEviT1_ ; -- Begin function _ZN2at6native12_GLOBAL__N_116_elemwise_kernelILi256ELi4EZNS1_43_compute_linear_combination_internal_kernelIhEEvRNS_14TensorIteratorEiiiEUliE_EEviT1_
	.p2align	8
	.type	_ZN2at6native12_GLOBAL__N_116_elemwise_kernelILi256ELi4EZNS1_43_compute_linear_combination_internal_kernelIhEEvRNS_14TensorIteratorEiiiEUliE_EEviT1_,@function
_ZN2at6native12_GLOBAL__N_116_elemwise_kernelILi256ELi4EZNS1_43_compute_linear_combination_internal_kernelIhEEvRNS_14TensorIteratorEiiiEUliE_EEviT1_: ; @_ZN2at6native12_GLOBAL__N_116_elemwise_kernelILi256ELi4EZNS1_43_compute_linear_combination_internal_kernelIhEEvRNS_14TensorIteratorEiiiEUliE_EEviT1_
; %bb.0:
	s_clause 0x6
	s_load_b256 s[4:11], s[0:1], 0x8
	s_load_b32 s28, s[0:1], 0x0
	s_load_b128 s[16:19], s[0:1], 0x1a8
	s_load_b128 s[24:27], s[0:1], 0xcc
	s_load_b64 s[12:13], s[0:1], 0xdc
	s_load_b64 s[2:3], s[0:1], 0x1a0
	s_load_b128 s[20:23], s[0:1], 0x190
	s_or_b32 s0, s0, 8
	v_lshl_or_b32 v6, s15, 10, v0
	s_mov_b32 s31, -1
	s_mov_b32 s30, exec_lo
	s_waitcnt lgkmcnt(0)
	s_add_i32 s11, s4, -1
	s_delay_alu instid0(SALU_CYCLE_1)
	s_cmp_gt_u32 s11, 1
	s_cselect_b32 s14, -1, 0
	s_cmp_lg_u32 s4, 0
	v_cndmask_b32_e64 v7, 0, 1, s14
	s_cselect_b32 s29, -1, 0
	s_min_u32 s19, s11, 15
	s_cmp_gt_u32 s4, 1
	s_cselect_b32 s11, -1, 0
	s_cmp_gt_i32 s16, 0
	s_cselect_b32 s4, -1, 0
	v_cmpx_gt_i32_e64 s28, v6
	s_cbranch_execnz .LBB0_4
; %bb.1:
	s_or_b32 exec_lo, exec_lo, s30
	s_delay_alu instid0(SALU_CYCLE_1)
	s_mov_b32 s30, exec_lo
	v_cmpx_gt_i32_e64 s28, v6
	s_cbranch_execnz .LBB0_18
.LBB0_2:
	s_or_b32 exec_lo, exec_lo, s30
	s_delay_alu instid0(SALU_CYCLE_1)
	s_mov_b32 s30, exec_lo
	v_cmpx_gt_i32_e64 s28, v6
	s_cbranch_execnz .LBB0_32
.LBB0_3:
	s_or_b32 exec_lo, exec_lo, s30
	s_delay_alu instid0(SALU_CYCLE_1)
	s_mov_b32 s14, exec_lo
	v_cmpx_gt_i32_e64 s28, v6
	s_cbranch_execnz .LBB0_46
	s_branch .LBB0_59
.LBB0_4:
	s_and_not1_b32 vcc_lo, exec_lo, s14
	s_cbranch_vccnz .LBB0_10
; %bb.5:
	v_dual_mov_b32 v2, 0 :: v_dual_mov_b32 v1, 0
	v_mov_b32_e32 v0, 0
	s_and_not1_b32 vcc_lo, exec_lo, s29
	s_mov_b32 s31, 0
	s_cbranch_vccnz .LBB0_11
; %bb.6:
	s_add_i32 s14, s19, 1
	v_dual_mov_b32 v0, 0 :: v_dual_mov_b32 v1, 0
	v_dual_mov_b32 v2, 0 :: v_dual_mov_b32 v3, v6
	s_and_b32 s33, s14, 30
	s_add_u32 s14, s0, 0xffffffec
	s_addc_u32 s15, s1, -1
	s_set_inst_prefetch_distance 0x1
	.p2align	6
.LBB0_7:                                ; =>This Inner Loop Header: Depth=1
	s_clause 0x2
	s_load_b128 s[36:39], s[14:15], 0x18
	s_load_b64 s[34:35], s[14:15], 0x28
	s_load_b128 s[40:43], s[14:15], 0xd8
	s_waitcnt lgkmcnt(0)
	v_mul_hi_u32 v4, s37, v3
	s_delay_alu instid0(VALU_DEP_1) | instskip(NEXT) | instid1(VALU_DEP_1)
	v_add_nc_u32_e32 v4, v3, v4
	v_lshrrev_b32_e32 v4, s38, v4
	s_delay_alu instid0(VALU_DEP_1)
	v_mul_hi_u32 v5, s34, v4
	v_mul_lo_u32 v8, v4, s36
	s_load_b64 s[36:37], s[14:15], 0xe8
	s_add_u32 s14, s14, 24
	s_addc_u32 s15, s15, 0
	s_add_i32 s33, s33, -2
	s_delay_alu instid0(SALU_CYCLE_1) | instskip(NEXT) | instid1(VALU_DEP_2)
	s_cmp_lg_u32 s33, 0
	v_add_nc_u32_e32 v5, v4, v5
	s_delay_alu instid0(VALU_DEP_2) | instskip(NEXT) | instid1(VALU_DEP_2)
	v_sub_nc_u32_e32 v8, v3, v8
	v_lshrrev_b32_e32 v3, s35, v5
	s_delay_alu instid0(VALU_DEP_2) | instskip(NEXT) | instid1(VALU_DEP_2)
	v_mul_lo_u32 v9, v8, s40
	v_mul_lo_u32 v5, v3, s39
	s_delay_alu instid0(VALU_DEP_1) | instskip(SKIP_2) | instid1(VALU_DEP_3)
	v_sub_nc_u32_e32 v4, v4, v5
	v_mul_lo_u32 v5, v8, s41
	v_mul_lo_u32 v8, v8, s42
	;; [unrolled: 1-line block ×3, first 2 shown]
	s_waitcnt lgkmcnt(0)
	v_mul_lo_u32 v11, v4, s36
	v_mul_lo_u32 v4, v4, s37
	s_delay_alu instid0(VALU_DEP_3) | instskip(NEXT) | instid1(VALU_DEP_3)
	v_add3_u32 v2, v9, v2, v10
	v_add3_u32 v1, v5, v1, v11
	s_delay_alu instid0(VALU_DEP_3)
	v_add3_u32 v0, v8, v0, v4
	s_cbranch_scc1 .LBB0_7
; %bb.8:
	s_set_inst_prefetch_distance 0x2
	s_bitcmp1_b32 s19, 0
	s_cselect_b32 s33, -1, 0
	s_delay_alu instid0(SALU_CYCLE_1)
	s_and_b32 vcc_lo, exec_lo, s33
	s_cbranch_vccnz .LBB0_11
; %bb.9:
	s_clause 0x3
	s_load_b64 s[34:35], s[14:15], 0x18
	s_load_b32 s33, s[14:15], 0x20
	s_load_b64 s[36:37], s[14:15], 0xd8
	s_load_b32 s14, s[14:15], 0xe0
	s_waitcnt lgkmcnt(0)
	v_mul_hi_u32 v4, s35, v3
	s_delay_alu instid0(VALU_DEP_1) | instskip(NEXT) | instid1(VALU_DEP_1)
	v_add_nc_u32_e32 v4, v3, v4
	v_lshrrev_b32_e32 v4, s33, v4
	s_delay_alu instid0(VALU_DEP_1) | instskip(NEXT) | instid1(VALU_DEP_1)
	v_mul_lo_u32 v4, v4, s34
	v_sub_nc_u32_e32 v10, v3, v4
	s_delay_alu instid0(VALU_DEP_1) | instskip(SKIP_2) | instid1(VALU_DEP_2)
	v_mad_u64_u32 v[3:4], null, v10, s36, v[2:3]
	v_mad_u64_u32 v[4:5], null, v10, s37, v[1:2]
	;; [unrolled: 1-line block ×3, first 2 shown]
	v_dual_mov_b32 v2, v3 :: v_dual_mov_b32 v1, v4
	s_delay_alu instid0(VALU_DEP_2)
	v_mov_b32_e32 v0, v8
	s_branch .LBB0_11
.LBB0_10:
                                        ; implicit-def: $vgpr2
                                        ; implicit-def: $vgpr1
                                        ; implicit-def: $vgpr0
.LBB0_11:
	s_and_not1_b32 vcc_lo, exec_lo, s31
	s_cbranch_vccnz .LBB0_14
; %bb.12:
	v_mul_hi_u32 v0, s6, v6
	s_and_not1_b32 vcc_lo, exec_lo, s11
	s_delay_alu instid0(VALU_DEP_1) | instskip(NEXT) | instid1(VALU_DEP_1)
	v_add_nc_u32_e32 v0, v6, v0
	v_lshrrev_b32_e32 v3, s7, v0
	s_delay_alu instid0(VALU_DEP_1) | instskip(NEXT) | instid1(VALU_DEP_1)
	v_mul_lo_u32 v0, v3, s5
	v_sub_nc_u32_e32 v0, v6, v0
	s_delay_alu instid0(VALU_DEP_1)
	v_mul_lo_u32 v2, v0, s24
	v_mul_lo_u32 v1, v0, s25
	;; [unrolled: 1-line block ×3, first 2 shown]
	s_cbranch_vccnz .LBB0_14
; %bb.13:
	v_mul_hi_u32 v4, s9, v3
	s_delay_alu instid0(VALU_DEP_1) | instskip(NEXT) | instid1(VALU_DEP_1)
	v_add_nc_u32_e32 v4, v3, v4
	v_lshrrev_b32_e32 v4, s10, v4
	s_delay_alu instid0(VALU_DEP_1) | instskip(NEXT) | instid1(VALU_DEP_1)
	v_mul_lo_u32 v4, v4, s8
	v_sub_nc_u32_e32 v10, v3, v4
	s_delay_alu instid0(VALU_DEP_1) | instskip(SKIP_2) | instid1(VALU_DEP_2)
	v_mad_u64_u32 v[3:4], null, v10, s27, v[2:3]
	v_mad_u64_u32 v[4:5], null, v10, s12, v[1:2]
	;; [unrolled: 1-line block ×3, first 2 shown]
	v_dual_mov_b32 v2, v3 :: v_dual_mov_b32 v1, v4
	s_delay_alu instid0(VALU_DEP_2)
	v_mov_b32_e32 v0, v8
.LBB0_14:
	s_and_not1_b32 vcc_lo, exec_lo, s4
	s_cbranch_vccnz .LBB0_17
; %bb.15:
	global_load_u8 v8, v2, s[20:21]
	v_add_co_u32 v2, s14, s20, v2
	s_delay_alu instid0(VALU_DEP_1) | instskip(SKIP_1) | instid1(VALU_DEP_1)
	v_add_co_ci_u32_e64 v3, null, s21, 0, s14
	v_add_co_u32 v4, s14, s22, v1
	v_add_co_ci_u32_e64 v5, null, s23, 0, s14
	v_add_co_u32 v0, s14, s2, v0
	s_delay_alu instid0(VALU_DEP_1)
	v_add_co_ci_u32_e64 v1, null, s3, 0, s14
	s_ashr_i32 s14, s18, 31
	s_ashr_i32 s15, s17, 31
	s_mov_b32 s31, s17
	s_mov_b32 s33, s16
	.p2align	6
.LBB0_16:                               ; =>This Inner Loop Header: Depth=1
	global_load_u8 v9, v[4:5], off
	global_load_u8 v10, v[0:1], off
	v_add_co_u32 v0, vcc_lo, v0, s18
	v_add_co_ci_u32_e32 v1, vcc_lo, s14, v1, vcc_lo
	v_add_co_u32 v4, vcc_lo, v4, s31
	v_add_co_ci_u32_e32 v5, vcc_lo, s15, v5, vcc_lo
	s_add_i32 s33, s33, -1
	s_delay_alu instid0(SALU_CYCLE_1)
	s_cmp_lg_u32 s33, 0
	s_waitcnt vmcnt(0)
	v_mad_u16 v8, v10, v9, v8
	global_store_b8 v[2:3], v8, off
	s_cbranch_scc1 .LBB0_16
.LBB0_17:
	v_add_nc_u32_e32 v6, 0x100, v6
	s_or_b32 exec_lo, exec_lo, s30
	s_delay_alu instid0(SALU_CYCLE_1) | instskip(NEXT) | instid1(VALU_DEP_1)
	s_mov_b32 s30, exec_lo
	v_cmpx_gt_i32_e64 s28, v6
	s_cbranch_execz .LBB0_2
.LBB0_18:
	v_cmp_ne_u32_e32 vcc_lo, 1, v7
	s_cbranch_vccnz .LBB0_24
; %bb.19:
	v_dual_mov_b32 v2, 0 :: v_dual_mov_b32 v1, 0
	v_mov_b32_e32 v0, 0
	s_and_not1_b32 vcc_lo, exec_lo, s29
	s_mov_b32 s31, 0
	s_cbranch_vccnz .LBB0_25
; %bb.20:
	s_add_i32 s14, s19, 1
	v_dual_mov_b32 v0, 0 :: v_dual_mov_b32 v1, 0
	v_dual_mov_b32 v2, 0 :: v_dual_mov_b32 v3, v6
	s_and_b32 s33, s14, 30
	s_add_u32 s14, s0, 0xffffffec
	s_addc_u32 s15, s1, -1
	s_set_inst_prefetch_distance 0x1
	.p2align	6
.LBB0_21:                               ; =>This Inner Loop Header: Depth=1
	s_clause 0x2
	s_load_b128 s[36:39], s[14:15], 0x18
	s_load_b64 s[34:35], s[14:15], 0x28
	s_load_b128 s[40:43], s[14:15], 0xd8
	s_waitcnt lgkmcnt(0)
	v_mul_hi_u32 v4, s37, v3
	s_delay_alu instid0(VALU_DEP_1) | instskip(NEXT) | instid1(VALU_DEP_1)
	v_add_nc_u32_e32 v4, v3, v4
	v_lshrrev_b32_e32 v4, s38, v4
	s_delay_alu instid0(VALU_DEP_1)
	v_mul_hi_u32 v5, s34, v4
	v_mul_lo_u32 v8, v4, s36
	s_load_b64 s[36:37], s[14:15], 0xe8
	s_add_u32 s14, s14, 24
	s_addc_u32 s15, s15, 0
	s_add_i32 s33, s33, -2
	s_delay_alu instid0(SALU_CYCLE_1) | instskip(NEXT) | instid1(VALU_DEP_2)
	s_cmp_eq_u32 s33, 0
	v_add_nc_u32_e32 v5, v4, v5
	s_delay_alu instid0(VALU_DEP_2) | instskip(NEXT) | instid1(VALU_DEP_2)
	v_sub_nc_u32_e32 v8, v3, v8
	v_lshrrev_b32_e32 v3, s35, v5
	s_delay_alu instid0(VALU_DEP_2) | instskip(NEXT) | instid1(VALU_DEP_2)
	v_mul_lo_u32 v9, v8, s40
	v_mul_lo_u32 v5, v3, s39
	s_delay_alu instid0(VALU_DEP_1) | instskip(SKIP_2) | instid1(VALU_DEP_3)
	v_sub_nc_u32_e32 v4, v4, v5
	v_mul_lo_u32 v5, v8, s41
	v_mul_lo_u32 v8, v8, s42
	;; [unrolled: 1-line block ×3, first 2 shown]
	s_waitcnt lgkmcnt(0)
	v_mul_lo_u32 v11, v4, s36
	v_mul_lo_u32 v4, v4, s37
	s_delay_alu instid0(VALU_DEP_3) | instskip(NEXT) | instid1(VALU_DEP_3)
	v_add3_u32 v2, v9, v2, v10
	v_add3_u32 v1, v5, v1, v11
	s_delay_alu instid0(VALU_DEP_3)
	v_add3_u32 v0, v8, v0, v4
	s_cbranch_scc0 .LBB0_21
; %bb.22:
	s_set_inst_prefetch_distance 0x2
	s_bitcmp1_b32 s19, 0
	s_cselect_b32 s33, -1, 0
	s_delay_alu instid0(SALU_CYCLE_1)
	s_and_b32 vcc_lo, exec_lo, s33
	s_cbranch_vccnz .LBB0_25
; %bb.23:
	s_clause 0x3
	s_load_b64 s[34:35], s[14:15], 0x18
	s_load_b32 s33, s[14:15], 0x20
	s_load_b64 s[36:37], s[14:15], 0xd8
	s_load_b32 s14, s[14:15], 0xe0
	s_waitcnt lgkmcnt(0)
	v_mul_hi_u32 v4, s35, v3
	s_delay_alu instid0(VALU_DEP_1) | instskip(NEXT) | instid1(VALU_DEP_1)
	v_add_nc_u32_e32 v4, v3, v4
	v_lshrrev_b32_e32 v4, s33, v4
	s_delay_alu instid0(VALU_DEP_1) | instskip(NEXT) | instid1(VALU_DEP_1)
	v_mul_lo_u32 v4, v4, s34
	v_sub_nc_u32_e32 v10, v3, v4
	s_delay_alu instid0(VALU_DEP_1) | instskip(SKIP_2) | instid1(VALU_DEP_2)
	v_mad_u64_u32 v[3:4], null, v10, s36, v[2:3]
	v_mad_u64_u32 v[4:5], null, v10, s37, v[1:2]
	;; [unrolled: 1-line block ×3, first 2 shown]
	v_dual_mov_b32 v2, v3 :: v_dual_mov_b32 v1, v4
	s_delay_alu instid0(VALU_DEP_2)
	v_mov_b32_e32 v0, v8
	s_branch .LBB0_25
.LBB0_24:
	s_mov_b32 s31, -1
                                        ; implicit-def: $vgpr2
                                        ; implicit-def: $vgpr1
                                        ; implicit-def: $vgpr0
.LBB0_25:
	s_delay_alu instid0(SALU_CYCLE_1)
	s_and_not1_b32 vcc_lo, exec_lo, s31
	s_cbranch_vccnz .LBB0_28
; %bb.26:
	v_mul_hi_u32 v0, s6, v6
	s_and_not1_b32 vcc_lo, exec_lo, s11
	s_delay_alu instid0(VALU_DEP_1) | instskip(NEXT) | instid1(VALU_DEP_1)
	v_add_nc_u32_e32 v0, v6, v0
	v_lshrrev_b32_e32 v3, s7, v0
	s_delay_alu instid0(VALU_DEP_1) | instskip(NEXT) | instid1(VALU_DEP_1)
	v_mul_lo_u32 v0, v3, s5
	v_sub_nc_u32_e32 v0, v6, v0
	s_delay_alu instid0(VALU_DEP_1)
	v_mul_lo_u32 v2, v0, s24
	v_mul_lo_u32 v1, v0, s25
	;; [unrolled: 1-line block ×3, first 2 shown]
	s_cbranch_vccnz .LBB0_28
; %bb.27:
	v_mul_hi_u32 v4, s9, v3
	s_delay_alu instid0(VALU_DEP_1) | instskip(NEXT) | instid1(VALU_DEP_1)
	v_add_nc_u32_e32 v4, v3, v4
	v_lshrrev_b32_e32 v4, s10, v4
	s_delay_alu instid0(VALU_DEP_1) | instskip(NEXT) | instid1(VALU_DEP_1)
	v_mul_lo_u32 v4, v4, s8
	v_sub_nc_u32_e32 v10, v3, v4
	s_delay_alu instid0(VALU_DEP_1) | instskip(SKIP_2) | instid1(VALU_DEP_2)
	v_mad_u64_u32 v[3:4], null, v10, s27, v[2:3]
	v_mad_u64_u32 v[4:5], null, v10, s12, v[1:2]
	;; [unrolled: 1-line block ×3, first 2 shown]
	v_dual_mov_b32 v2, v3 :: v_dual_mov_b32 v1, v4
	s_delay_alu instid0(VALU_DEP_2)
	v_mov_b32_e32 v0, v8
.LBB0_28:
	s_and_not1_b32 vcc_lo, exec_lo, s4
	s_cbranch_vccnz .LBB0_31
; %bb.29:
	global_load_u8 v8, v2, s[20:21]
	v_add_co_u32 v2, s14, s20, v2
	s_delay_alu instid0(VALU_DEP_1) | instskip(SKIP_1) | instid1(VALU_DEP_1)
	v_add_co_ci_u32_e64 v3, null, s21, 0, s14
	v_add_co_u32 v4, s14, s22, v1
	v_add_co_ci_u32_e64 v5, null, s23, 0, s14
	v_add_co_u32 v0, s14, s2, v0
	s_delay_alu instid0(VALU_DEP_1)
	v_add_co_ci_u32_e64 v1, null, s3, 0, s14
	s_ashr_i32 s14, s18, 31
	s_ashr_i32 s15, s17, 31
	s_mov_b32 s31, s17
	s_mov_b32 s33, s16
	.p2align	6
.LBB0_30:                               ; =>This Inner Loop Header: Depth=1
	global_load_u8 v9, v[4:5], off
	global_load_u8 v10, v[0:1], off
	v_add_co_u32 v0, vcc_lo, v0, s18
	v_add_co_ci_u32_e32 v1, vcc_lo, s14, v1, vcc_lo
	v_add_co_u32 v4, vcc_lo, v4, s31
	v_add_co_ci_u32_e32 v5, vcc_lo, s15, v5, vcc_lo
	s_add_i32 s33, s33, -1
	s_delay_alu instid0(SALU_CYCLE_1)
	s_cmp_lg_u32 s33, 0
	s_waitcnt vmcnt(0)
	v_mad_u16 v8, v10, v9, v8
	global_store_b8 v[2:3], v8, off
	s_cbranch_scc1 .LBB0_30
.LBB0_31:
	v_add_nc_u32_e32 v6, 0x100, v6
	s_or_b32 exec_lo, exec_lo, s30
	s_delay_alu instid0(SALU_CYCLE_1) | instskip(NEXT) | instid1(VALU_DEP_1)
	s_mov_b32 s30, exec_lo
	v_cmpx_gt_i32_e64 s28, v6
	s_cbranch_execz .LBB0_3
.LBB0_32:
	v_cmp_ne_u32_e32 vcc_lo, 1, v7
	s_cbranch_vccnz .LBB0_38
; %bb.33:
	v_dual_mov_b32 v2, 0 :: v_dual_mov_b32 v1, 0
	v_mov_b32_e32 v0, 0
	s_and_not1_b32 vcc_lo, exec_lo, s29
	s_mov_b32 s31, 0
	s_cbranch_vccnz .LBB0_39
; %bb.34:
	s_add_i32 s14, s19, 1
	v_dual_mov_b32 v0, 0 :: v_dual_mov_b32 v1, 0
	v_dual_mov_b32 v2, 0 :: v_dual_mov_b32 v3, v6
	s_and_b32 s33, s14, 30
	s_add_u32 s14, s0, 0xffffffec
	s_addc_u32 s15, s1, -1
	s_set_inst_prefetch_distance 0x1
	.p2align	6
.LBB0_35:                               ; =>This Inner Loop Header: Depth=1
	s_clause 0x2
	s_load_b128 s[36:39], s[14:15], 0x18
	s_load_b64 s[34:35], s[14:15], 0x28
	s_load_b128 s[40:43], s[14:15], 0xd8
	s_waitcnt lgkmcnt(0)
	v_mul_hi_u32 v4, s37, v3
	s_delay_alu instid0(VALU_DEP_1) | instskip(NEXT) | instid1(VALU_DEP_1)
	v_add_nc_u32_e32 v4, v3, v4
	v_lshrrev_b32_e32 v4, s38, v4
	s_delay_alu instid0(VALU_DEP_1)
	v_mul_hi_u32 v5, s34, v4
	v_mul_lo_u32 v8, v4, s36
	s_load_b64 s[36:37], s[14:15], 0xe8
	s_add_u32 s14, s14, 24
	s_addc_u32 s15, s15, 0
	s_add_i32 s33, s33, -2
	s_delay_alu instid0(SALU_CYCLE_1) | instskip(NEXT) | instid1(VALU_DEP_2)
	s_cmp_eq_u32 s33, 0
	v_add_nc_u32_e32 v5, v4, v5
	s_delay_alu instid0(VALU_DEP_2) | instskip(NEXT) | instid1(VALU_DEP_2)
	v_sub_nc_u32_e32 v8, v3, v8
	v_lshrrev_b32_e32 v3, s35, v5
	s_delay_alu instid0(VALU_DEP_2) | instskip(NEXT) | instid1(VALU_DEP_2)
	v_mul_lo_u32 v9, v8, s40
	v_mul_lo_u32 v5, v3, s39
	s_delay_alu instid0(VALU_DEP_1) | instskip(SKIP_2) | instid1(VALU_DEP_3)
	v_sub_nc_u32_e32 v4, v4, v5
	v_mul_lo_u32 v5, v8, s41
	v_mul_lo_u32 v8, v8, s42
	;; [unrolled: 1-line block ×3, first 2 shown]
	s_waitcnt lgkmcnt(0)
	v_mul_lo_u32 v11, v4, s36
	v_mul_lo_u32 v4, v4, s37
	s_delay_alu instid0(VALU_DEP_3) | instskip(NEXT) | instid1(VALU_DEP_3)
	v_add3_u32 v2, v9, v2, v10
	v_add3_u32 v1, v5, v1, v11
	s_delay_alu instid0(VALU_DEP_3)
	v_add3_u32 v0, v8, v0, v4
	s_cbranch_scc0 .LBB0_35
; %bb.36:
	s_set_inst_prefetch_distance 0x2
	s_bitcmp1_b32 s19, 0
	s_cselect_b32 s33, -1, 0
	s_delay_alu instid0(SALU_CYCLE_1)
	s_and_b32 vcc_lo, exec_lo, s33
	s_cbranch_vccnz .LBB0_39
; %bb.37:
	s_clause 0x3
	s_load_b64 s[34:35], s[14:15], 0x18
	s_load_b32 s33, s[14:15], 0x20
	s_load_b64 s[36:37], s[14:15], 0xd8
	s_load_b32 s14, s[14:15], 0xe0
	s_waitcnt lgkmcnt(0)
	v_mul_hi_u32 v4, s35, v3
	s_delay_alu instid0(VALU_DEP_1) | instskip(NEXT) | instid1(VALU_DEP_1)
	v_add_nc_u32_e32 v4, v3, v4
	v_lshrrev_b32_e32 v4, s33, v4
	s_delay_alu instid0(VALU_DEP_1) | instskip(NEXT) | instid1(VALU_DEP_1)
	v_mul_lo_u32 v4, v4, s34
	v_sub_nc_u32_e32 v10, v3, v4
	s_delay_alu instid0(VALU_DEP_1) | instskip(SKIP_2) | instid1(VALU_DEP_2)
	v_mad_u64_u32 v[3:4], null, v10, s36, v[2:3]
	v_mad_u64_u32 v[4:5], null, v10, s37, v[1:2]
	v_mad_u64_u32 v[8:9], null, v10, s14, v[0:1]
	v_dual_mov_b32 v2, v3 :: v_dual_mov_b32 v1, v4
	s_delay_alu instid0(VALU_DEP_2)
	v_mov_b32_e32 v0, v8
	s_branch .LBB0_39
.LBB0_38:
	s_mov_b32 s31, -1
                                        ; implicit-def: $vgpr2
                                        ; implicit-def: $vgpr1
                                        ; implicit-def: $vgpr0
.LBB0_39:
	s_delay_alu instid0(SALU_CYCLE_1)
	s_and_not1_b32 vcc_lo, exec_lo, s31
	s_cbranch_vccnz .LBB0_42
; %bb.40:
	v_mul_hi_u32 v0, s6, v6
	s_and_not1_b32 vcc_lo, exec_lo, s11
	s_delay_alu instid0(VALU_DEP_1) | instskip(NEXT) | instid1(VALU_DEP_1)
	v_add_nc_u32_e32 v0, v6, v0
	v_lshrrev_b32_e32 v3, s7, v0
	s_delay_alu instid0(VALU_DEP_1) | instskip(NEXT) | instid1(VALU_DEP_1)
	v_mul_lo_u32 v0, v3, s5
	v_sub_nc_u32_e32 v0, v6, v0
	s_delay_alu instid0(VALU_DEP_1)
	v_mul_lo_u32 v2, v0, s24
	v_mul_lo_u32 v1, v0, s25
	;; [unrolled: 1-line block ×3, first 2 shown]
	s_cbranch_vccnz .LBB0_42
; %bb.41:
	v_mul_hi_u32 v4, s9, v3
	s_delay_alu instid0(VALU_DEP_1) | instskip(NEXT) | instid1(VALU_DEP_1)
	v_add_nc_u32_e32 v4, v3, v4
	v_lshrrev_b32_e32 v4, s10, v4
	s_delay_alu instid0(VALU_DEP_1) | instskip(NEXT) | instid1(VALU_DEP_1)
	v_mul_lo_u32 v4, v4, s8
	v_sub_nc_u32_e32 v10, v3, v4
	s_delay_alu instid0(VALU_DEP_1) | instskip(SKIP_2) | instid1(VALU_DEP_2)
	v_mad_u64_u32 v[3:4], null, v10, s27, v[2:3]
	v_mad_u64_u32 v[4:5], null, v10, s12, v[1:2]
	;; [unrolled: 1-line block ×3, first 2 shown]
	v_dual_mov_b32 v2, v3 :: v_dual_mov_b32 v1, v4
	s_delay_alu instid0(VALU_DEP_2)
	v_mov_b32_e32 v0, v8
.LBB0_42:
	s_and_not1_b32 vcc_lo, exec_lo, s4
	s_cbranch_vccnz .LBB0_45
; %bb.43:
	global_load_u8 v8, v2, s[20:21]
	v_add_co_u32 v2, s14, s20, v2
	s_delay_alu instid0(VALU_DEP_1) | instskip(SKIP_1) | instid1(VALU_DEP_1)
	v_add_co_ci_u32_e64 v3, null, s21, 0, s14
	v_add_co_u32 v4, s14, s22, v1
	v_add_co_ci_u32_e64 v5, null, s23, 0, s14
	v_add_co_u32 v0, s14, s2, v0
	s_delay_alu instid0(VALU_DEP_1)
	v_add_co_ci_u32_e64 v1, null, s3, 0, s14
	s_ashr_i32 s14, s18, 31
	s_ashr_i32 s15, s17, 31
	s_mov_b32 s31, s17
	s_mov_b32 s33, s16
	.p2align	6
.LBB0_44:                               ; =>This Inner Loop Header: Depth=1
	global_load_u8 v9, v[4:5], off
	global_load_u8 v10, v[0:1], off
	v_add_co_u32 v0, vcc_lo, v0, s18
	v_add_co_ci_u32_e32 v1, vcc_lo, s14, v1, vcc_lo
	v_add_co_u32 v4, vcc_lo, v4, s31
	v_add_co_ci_u32_e32 v5, vcc_lo, s15, v5, vcc_lo
	s_add_i32 s33, s33, -1
	s_delay_alu instid0(SALU_CYCLE_1)
	s_cmp_lg_u32 s33, 0
	s_waitcnt vmcnt(0)
	v_mad_u16 v8, v10, v9, v8
	global_store_b8 v[2:3], v8, off
	s_cbranch_scc1 .LBB0_44
.LBB0_45:
	v_add_nc_u32_e32 v6, 0x100, v6
	s_or_b32 exec_lo, exec_lo, s30
	s_delay_alu instid0(SALU_CYCLE_1) | instskip(NEXT) | instid1(VALU_DEP_1)
	s_mov_b32 s14, exec_lo
	v_cmpx_gt_i32_e64 s28, v6
	s_cbranch_execz .LBB0_59
.LBB0_46:
	v_cmp_ne_u32_e32 vcc_lo, 1, v7
	s_cbranch_vccnz .LBB0_52
; %bb.47:
	v_dual_mov_b32 v2, 0 :: v_dual_mov_b32 v1, 0
	v_mov_b32_e32 v0, 0
	s_and_not1_b32 vcc_lo, exec_lo, s29
	s_mov_b32 s14, 0
	s_cbranch_vccnz .LBB0_53
; %bb.48:
	s_add_i32 s15, s19, 1
	v_dual_mov_b32 v0, 0 :: v_dual_mov_b32 v1, 0
	v_dual_mov_b32 v2, 0 :: v_dual_mov_b32 v3, v6
	s_and_b32 s15, s15, 30
	s_add_u32 s0, s0, 0xffffffec
	s_addc_u32 s1, s1, -1
	s_set_inst_prefetch_distance 0x1
	.p2align	6
.LBB0_49:                               ; =>This Inner Loop Header: Depth=1
	s_clause 0x2
	s_load_b128 s[28:31], s[0:1], 0x18
	s_load_b64 s[34:35], s[0:1], 0x28
	s_load_b128 s[36:39], s[0:1], 0xd8
	s_waitcnt lgkmcnt(0)
	v_mul_hi_u32 v4, s29, v3
	s_delay_alu instid0(VALU_DEP_1) | instskip(NEXT) | instid1(VALU_DEP_1)
	v_add_nc_u32_e32 v4, v3, v4
	v_lshrrev_b32_e32 v4, s30, v4
	s_delay_alu instid0(VALU_DEP_1)
	v_mul_hi_u32 v5, s34, v4
	v_mul_lo_u32 v7, v4, s28
	s_load_b64 s[28:29], s[0:1], 0xe8
	s_add_u32 s0, s0, 24
	s_addc_u32 s1, s1, 0
	s_add_i32 s15, s15, -2
	s_delay_alu instid0(SALU_CYCLE_1) | instskip(NEXT) | instid1(VALU_DEP_2)
	s_cmp_eq_u32 s15, 0
	v_add_nc_u32_e32 v5, v4, v5
	s_delay_alu instid0(VALU_DEP_2) | instskip(NEXT) | instid1(VALU_DEP_2)
	v_sub_nc_u32_e32 v7, v3, v7
	v_lshrrev_b32_e32 v3, s35, v5
	s_delay_alu instid0(VALU_DEP_2) | instskip(NEXT) | instid1(VALU_DEP_2)
	v_mul_lo_u32 v8, v7, s36
	v_mul_lo_u32 v5, v3, s31
	s_delay_alu instid0(VALU_DEP_1) | instskip(SKIP_2) | instid1(VALU_DEP_3)
	v_sub_nc_u32_e32 v4, v4, v5
	v_mul_lo_u32 v5, v7, s37
	v_mul_lo_u32 v7, v7, s38
	;; [unrolled: 1-line block ×3, first 2 shown]
	s_waitcnt lgkmcnt(0)
	v_mul_lo_u32 v10, v4, s28
	v_mul_lo_u32 v4, v4, s29
	s_delay_alu instid0(VALU_DEP_3) | instskip(NEXT) | instid1(VALU_DEP_3)
	v_add3_u32 v2, v8, v2, v9
	v_add3_u32 v1, v5, v1, v10
	s_delay_alu instid0(VALU_DEP_3)
	v_add3_u32 v0, v7, v0, v4
	s_cbranch_scc0 .LBB0_49
; %bb.50:
	s_set_inst_prefetch_distance 0x2
	s_bitcmp1_b32 s19, 0
	s_cselect_b32 s15, -1, 0
	s_delay_alu instid0(SALU_CYCLE_1)
	s_and_b32 vcc_lo, exec_lo, s15
	s_cbranch_vccnz .LBB0_53
; %bb.51:
	s_clause 0x3
	s_load_b64 s[28:29], s[0:1], 0x18
	s_load_b32 s15, s[0:1], 0x20
	s_load_b64 s[30:31], s[0:1], 0xd8
	s_load_b32 s0, s[0:1], 0xe0
	s_waitcnt lgkmcnt(0)
	v_mul_hi_u32 v4, s29, v3
	s_delay_alu instid0(VALU_DEP_1) | instskip(NEXT) | instid1(VALU_DEP_1)
	v_add_nc_u32_e32 v4, v3, v4
	v_lshrrev_b32_e32 v4, s15, v4
	s_delay_alu instid0(VALU_DEP_1) | instskip(NEXT) | instid1(VALU_DEP_1)
	v_mul_lo_u32 v4, v4, s28
	v_sub_nc_u32_e32 v9, v3, v4
	s_delay_alu instid0(VALU_DEP_1) | instskip(SKIP_2) | instid1(VALU_DEP_2)
	v_mad_u64_u32 v[3:4], null, v9, s30, v[2:3]
	v_mad_u64_u32 v[4:5], null, v9, s31, v[1:2]
	v_mad_u64_u32 v[7:8], null, v9, s0, v[0:1]
	v_dual_mov_b32 v2, v3 :: v_dual_mov_b32 v1, v4
	s_delay_alu instid0(VALU_DEP_2)
	v_mov_b32_e32 v0, v7
	s_branch .LBB0_53
.LBB0_52:
	s_mov_b32 s14, -1
                                        ; implicit-def: $vgpr2
                                        ; implicit-def: $vgpr1
                                        ; implicit-def: $vgpr0
.LBB0_53:
	s_delay_alu instid0(SALU_CYCLE_1)
	s_and_not1_b32 vcc_lo, exec_lo, s14
	s_cbranch_vccnz .LBB0_56
; %bb.54:
	v_mul_hi_u32 v0, s6, v6
	s_and_not1_b32 vcc_lo, exec_lo, s11
	s_delay_alu instid0(VALU_DEP_1) | instskip(NEXT) | instid1(VALU_DEP_1)
	v_add_nc_u32_e32 v0, v6, v0
	v_lshrrev_b32_e32 v3, s7, v0
	s_delay_alu instid0(VALU_DEP_1) | instskip(NEXT) | instid1(VALU_DEP_1)
	v_mul_lo_u32 v0, v3, s5
	v_sub_nc_u32_e32 v0, v6, v0
	s_delay_alu instid0(VALU_DEP_1)
	v_mul_lo_u32 v2, v0, s24
	v_mul_lo_u32 v1, v0, s25
	;; [unrolled: 1-line block ×3, first 2 shown]
	s_cbranch_vccnz .LBB0_56
; %bb.55:
	v_mul_hi_u32 v4, s9, v3
	s_delay_alu instid0(VALU_DEP_1) | instskip(NEXT) | instid1(VALU_DEP_1)
	v_add_nc_u32_e32 v4, v3, v4
	v_lshrrev_b32_e32 v4, s10, v4
	s_delay_alu instid0(VALU_DEP_1) | instskip(NEXT) | instid1(VALU_DEP_1)
	v_mul_lo_u32 v4, v4, s8
	v_sub_nc_u32_e32 v7, v3, v4
	s_delay_alu instid0(VALU_DEP_1) | instskip(SKIP_2) | instid1(VALU_DEP_2)
	v_mad_u64_u32 v[3:4], null, v7, s27, v[2:3]
	v_mad_u64_u32 v[4:5], null, v7, s12, v[1:2]
	;; [unrolled: 1-line block ×3, first 2 shown]
	v_dual_mov_b32 v2, v3 :: v_dual_mov_b32 v1, v4
	s_delay_alu instid0(VALU_DEP_2)
	v_mov_b32_e32 v0, v5
.LBB0_56:
	s_and_not1_b32 vcc_lo, exec_lo, s4
	s_cbranch_vccnz .LBB0_59
; %bb.57:
	global_load_u8 v6, v2, s[20:21]
	v_add_co_u32 v2, s0, s20, v2
	s_delay_alu instid0(VALU_DEP_1) | instskip(SKIP_1) | instid1(VALU_DEP_1)
	v_add_co_ci_u32_e64 v3, null, s21, 0, s0
	v_add_co_u32 v4, s0, s22, v1
	v_add_co_ci_u32_e64 v5, null, s23, 0, s0
	v_add_co_u32 v0, s0, s2, v0
	s_delay_alu instid0(VALU_DEP_1)
	v_add_co_ci_u32_e64 v1, null, s3, 0, s0
	s_ashr_i32 s0, s18, 31
	s_ashr_i32 s1, s17, 31
	s_mov_b32 s2, s17
	.p2align	6
.LBB0_58:                               ; =>This Inner Loop Header: Depth=1
	global_load_u8 v7, v[4:5], off
	global_load_u8 v8, v[0:1], off
	v_add_co_u32 v0, vcc_lo, v0, s18
	v_add_co_ci_u32_e32 v1, vcc_lo, s0, v1, vcc_lo
	v_add_co_u32 v4, vcc_lo, v4, s2
	v_add_co_ci_u32_e32 v5, vcc_lo, s1, v5, vcc_lo
	s_add_i32 s16, s16, -1
	s_delay_alu instid0(SALU_CYCLE_1)
	s_cmp_lg_u32 s16, 0
	s_waitcnt vmcnt(0)
	v_mad_u16 v6, v8, v7, v6
	global_store_b8 v[2:3], v6, off
	s_cbranch_scc1 .LBB0_58
.LBB0_59:
	s_nop 0
	s_sendmsg sendmsg(MSG_DEALLOC_VGPRS)
	s_endpgm
	.section	.rodata,"a",@progbits
	.p2align	6, 0x0
	.amdhsa_kernel _ZN2at6native12_GLOBAL__N_116_elemwise_kernelILi256ELi4EZNS1_43_compute_linear_combination_internal_kernelIhEEvRNS_14TensorIteratorEiiiEUliE_EEviT1_
		.amdhsa_group_segment_fixed_size 0
		.amdhsa_private_segment_fixed_size 0
		.amdhsa_kernarg_size 440
		.amdhsa_user_sgpr_count 15
		.amdhsa_user_sgpr_dispatch_ptr 0
		.amdhsa_user_sgpr_queue_ptr 0
		.amdhsa_user_sgpr_kernarg_segment_ptr 1
		.amdhsa_user_sgpr_dispatch_id 0
		.amdhsa_user_sgpr_private_segment_size 0
		.amdhsa_wavefront_size32 1
		.amdhsa_uses_dynamic_stack 0
		.amdhsa_enable_private_segment 0
		.amdhsa_system_sgpr_workgroup_id_x 1
		.amdhsa_system_sgpr_workgroup_id_y 0
		.amdhsa_system_sgpr_workgroup_id_z 0
		.amdhsa_system_sgpr_workgroup_info 0
		.amdhsa_system_vgpr_workitem_id 0
		.amdhsa_next_free_vgpr 12
		.amdhsa_next_free_sgpr 44
		.amdhsa_reserve_vcc 1
		.amdhsa_float_round_mode_32 0
		.amdhsa_float_round_mode_16_64 0
		.amdhsa_float_denorm_mode_32 3
		.amdhsa_float_denorm_mode_16_64 3
		.amdhsa_dx10_clamp 1
		.amdhsa_ieee_mode 1
		.amdhsa_fp16_overflow 0
		.amdhsa_workgroup_processor_mode 1
		.amdhsa_memory_ordered 1
		.amdhsa_forward_progress 0
		.amdhsa_shared_vgpr_count 0
		.amdhsa_exception_fp_ieee_invalid_op 0
		.amdhsa_exception_fp_denorm_src 0
		.amdhsa_exception_fp_ieee_div_zero 0
		.amdhsa_exception_fp_ieee_overflow 0
		.amdhsa_exception_fp_ieee_underflow 0
		.amdhsa_exception_fp_ieee_inexact 0
		.amdhsa_exception_int_div_zero 0
	.end_amdhsa_kernel
	.section	.text._ZN2at6native12_GLOBAL__N_116_elemwise_kernelILi256ELi4EZNS1_43_compute_linear_combination_internal_kernelIhEEvRNS_14TensorIteratorEiiiEUliE_EEviT1_,"axG",@progbits,_ZN2at6native12_GLOBAL__N_116_elemwise_kernelILi256ELi4EZNS1_43_compute_linear_combination_internal_kernelIhEEvRNS_14TensorIteratorEiiiEUliE_EEviT1_,comdat
.Lfunc_end0:
	.size	_ZN2at6native12_GLOBAL__N_116_elemwise_kernelILi256ELi4EZNS1_43_compute_linear_combination_internal_kernelIhEEvRNS_14TensorIteratorEiiiEUliE_EEviT1_, .Lfunc_end0-_ZN2at6native12_GLOBAL__N_116_elemwise_kernelILi256ELi4EZNS1_43_compute_linear_combination_internal_kernelIhEEvRNS_14TensorIteratorEiiiEUliE_EEviT1_
                                        ; -- End function
	.section	.AMDGPU.csdata,"",@progbits
; Kernel info:
; codeLenInByte = 3424
; NumSgprs: 46
; NumVgprs: 12
; ScratchSize: 0
; MemoryBound: 0
; FloatMode: 240
; IeeeMode: 1
; LDSByteSize: 0 bytes/workgroup (compile time only)
; SGPRBlocks: 5
; VGPRBlocks: 1
; NumSGPRsForWavesPerEU: 46
; NumVGPRsForWavesPerEU: 12
; Occupancy: 16
; WaveLimiterHint : 1
; COMPUTE_PGM_RSRC2:SCRATCH_EN: 0
; COMPUTE_PGM_RSRC2:USER_SGPR: 15
; COMPUTE_PGM_RSRC2:TRAP_HANDLER: 0
; COMPUTE_PGM_RSRC2:TGID_X_EN: 1
; COMPUTE_PGM_RSRC2:TGID_Y_EN: 0
; COMPUTE_PGM_RSRC2:TGID_Z_EN: 0
; COMPUTE_PGM_RSRC2:TIDIG_COMP_CNT: 0
	.section	.text._ZN2at6native12_GLOBAL__N_116_elemwise_kernelILi256ELi4EZNS1_43_compute_linear_combination_internal_kernelIaEEvRNS_14TensorIteratorEiiiEUliE_EEviT1_,"axG",@progbits,_ZN2at6native12_GLOBAL__N_116_elemwise_kernelILi256ELi4EZNS1_43_compute_linear_combination_internal_kernelIaEEvRNS_14TensorIteratorEiiiEUliE_EEviT1_,comdat
	.globl	_ZN2at6native12_GLOBAL__N_116_elemwise_kernelILi256ELi4EZNS1_43_compute_linear_combination_internal_kernelIaEEvRNS_14TensorIteratorEiiiEUliE_EEviT1_ ; -- Begin function _ZN2at6native12_GLOBAL__N_116_elemwise_kernelILi256ELi4EZNS1_43_compute_linear_combination_internal_kernelIaEEvRNS_14TensorIteratorEiiiEUliE_EEviT1_
	.p2align	8
	.type	_ZN2at6native12_GLOBAL__N_116_elemwise_kernelILi256ELi4EZNS1_43_compute_linear_combination_internal_kernelIaEEvRNS_14TensorIteratorEiiiEUliE_EEviT1_,@function
_ZN2at6native12_GLOBAL__N_116_elemwise_kernelILi256ELi4EZNS1_43_compute_linear_combination_internal_kernelIaEEvRNS_14TensorIteratorEiiiEUliE_EEviT1_: ; @_ZN2at6native12_GLOBAL__N_116_elemwise_kernelILi256ELi4EZNS1_43_compute_linear_combination_internal_kernelIaEEvRNS_14TensorIteratorEiiiEUliE_EEviT1_
; %bb.0:
	s_clause 0x6
	s_load_b256 s[4:11], s[0:1], 0x8
	s_load_b32 s28, s[0:1], 0x0
	s_load_b128 s[16:19], s[0:1], 0x1a8
	s_load_b128 s[24:27], s[0:1], 0xcc
	s_load_b64 s[12:13], s[0:1], 0xdc
	s_load_b64 s[2:3], s[0:1], 0x1a0
	s_load_b128 s[20:23], s[0:1], 0x190
	s_or_b32 s0, s0, 8
	v_lshl_or_b32 v6, s15, 10, v0
	s_mov_b32 s31, -1
	s_mov_b32 s30, exec_lo
	s_waitcnt lgkmcnt(0)
	s_add_i32 s11, s4, -1
	s_delay_alu instid0(SALU_CYCLE_1)
	s_cmp_gt_u32 s11, 1
	s_cselect_b32 s14, -1, 0
	s_cmp_lg_u32 s4, 0
	v_cndmask_b32_e64 v7, 0, 1, s14
	s_cselect_b32 s29, -1, 0
	s_min_u32 s19, s11, 15
	s_cmp_gt_u32 s4, 1
	s_cselect_b32 s11, -1, 0
	s_cmp_gt_i32 s16, 0
	s_cselect_b32 s4, -1, 0
	v_cmpx_gt_i32_e64 s28, v6
	s_cbranch_execnz .LBB1_4
; %bb.1:
	s_or_b32 exec_lo, exec_lo, s30
	s_delay_alu instid0(SALU_CYCLE_1)
	s_mov_b32 s30, exec_lo
	v_cmpx_gt_i32_e64 s28, v6
	s_cbranch_execnz .LBB1_18
.LBB1_2:
	s_or_b32 exec_lo, exec_lo, s30
	s_delay_alu instid0(SALU_CYCLE_1)
	s_mov_b32 s30, exec_lo
	v_cmpx_gt_i32_e64 s28, v6
	s_cbranch_execnz .LBB1_32
.LBB1_3:
	s_or_b32 exec_lo, exec_lo, s30
	s_delay_alu instid0(SALU_CYCLE_1)
	s_mov_b32 s14, exec_lo
	v_cmpx_gt_i32_e64 s28, v6
	s_cbranch_execnz .LBB1_46
	s_branch .LBB1_59
.LBB1_4:
	s_and_not1_b32 vcc_lo, exec_lo, s14
	s_cbranch_vccnz .LBB1_10
; %bb.5:
	v_dual_mov_b32 v2, 0 :: v_dual_mov_b32 v1, 0
	v_mov_b32_e32 v0, 0
	s_and_not1_b32 vcc_lo, exec_lo, s29
	s_mov_b32 s31, 0
	s_cbranch_vccnz .LBB1_11
; %bb.6:
	s_add_i32 s14, s19, 1
	v_dual_mov_b32 v0, 0 :: v_dual_mov_b32 v1, 0
	v_dual_mov_b32 v2, 0 :: v_dual_mov_b32 v3, v6
	s_and_b32 s33, s14, 30
	s_add_u32 s14, s0, 0xffffffec
	s_addc_u32 s15, s1, -1
	s_set_inst_prefetch_distance 0x1
	.p2align	6
.LBB1_7:                                ; =>This Inner Loop Header: Depth=1
	s_clause 0x2
	s_load_b128 s[36:39], s[14:15], 0x18
	s_load_b64 s[34:35], s[14:15], 0x28
	s_load_b128 s[40:43], s[14:15], 0xd8
	s_waitcnt lgkmcnt(0)
	v_mul_hi_u32 v4, s37, v3
	s_delay_alu instid0(VALU_DEP_1) | instskip(NEXT) | instid1(VALU_DEP_1)
	v_add_nc_u32_e32 v4, v3, v4
	v_lshrrev_b32_e32 v4, s38, v4
	s_delay_alu instid0(VALU_DEP_1)
	v_mul_hi_u32 v5, s34, v4
	v_mul_lo_u32 v8, v4, s36
	s_load_b64 s[36:37], s[14:15], 0xe8
	s_add_u32 s14, s14, 24
	s_addc_u32 s15, s15, 0
	s_add_i32 s33, s33, -2
	s_delay_alu instid0(SALU_CYCLE_1) | instskip(NEXT) | instid1(VALU_DEP_2)
	s_cmp_lg_u32 s33, 0
	v_add_nc_u32_e32 v5, v4, v5
	s_delay_alu instid0(VALU_DEP_2) | instskip(NEXT) | instid1(VALU_DEP_2)
	v_sub_nc_u32_e32 v8, v3, v8
	v_lshrrev_b32_e32 v3, s35, v5
	s_delay_alu instid0(VALU_DEP_2) | instskip(NEXT) | instid1(VALU_DEP_2)
	v_mul_lo_u32 v9, v8, s40
	v_mul_lo_u32 v5, v3, s39
	s_delay_alu instid0(VALU_DEP_1) | instskip(SKIP_2) | instid1(VALU_DEP_3)
	v_sub_nc_u32_e32 v4, v4, v5
	v_mul_lo_u32 v5, v8, s41
	v_mul_lo_u32 v8, v8, s42
	;; [unrolled: 1-line block ×3, first 2 shown]
	s_waitcnt lgkmcnt(0)
	v_mul_lo_u32 v11, v4, s36
	v_mul_lo_u32 v4, v4, s37
	s_delay_alu instid0(VALU_DEP_3) | instskip(NEXT) | instid1(VALU_DEP_3)
	v_add3_u32 v2, v9, v2, v10
	v_add3_u32 v1, v5, v1, v11
	s_delay_alu instid0(VALU_DEP_3)
	v_add3_u32 v0, v8, v0, v4
	s_cbranch_scc1 .LBB1_7
; %bb.8:
	s_set_inst_prefetch_distance 0x2
	s_bitcmp1_b32 s19, 0
	s_cselect_b32 s33, -1, 0
	s_delay_alu instid0(SALU_CYCLE_1)
	s_and_b32 vcc_lo, exec_lo, s33
	s_cbranch_vccnz .LBB1_11
; %bb.9:
	s_clause 0x3
	s_load_b64 s[34:35], s[14:15], 0x18
	s_load_b32 s33, s[14:15], 0x20
	s_load_b64 s[36:37], s[14:15], 0xd8
	s_load_b32 s14, s[14:15], 0xe0
	s_waitcnt lgkmcnt(0)
	v_mul_hi_u32 v4, s35, v3
	s_delay_alu instid0(VALU_DEP_1) | instskip(NEXT) | instid1(VALU_DEP_1)
	v_add_nc_u32_e32 v4, v3, v4
	v_lshrrev_b32_e32 v4, s33, v4
	s_delay_alu instid0(VALU_DEP_1) | instskip(NEXT) | instid1(VALU_DEP_1)
	v_mul_lo_u32 v4, v4, s34
	v_sub_nc_u32_e32 v10, v3, v4
	s_delay_alu instid0(VALU_DEP_1) | instskip(SKIP_2) | instid1(VALU_DEP_2)
	v_mad_u64_u32 v[3:4], null, v10, s36, v[2:3]
	v_mad_u64_u32 v[4:5], null, v10, s37, v[1:2]
	;; [unrolled: 1-line block ×3, first 2 shown]
	v_dual_mov_b32 v2, v3 :: v_dual_mov_b32 v1, v4
	s_delay_alu instid0(VALU_DEP_2)
	v_mov_b32_e32 v0, v8
	s_branch .LBB1_11
.LBB1_10:
                                        ; implicit-def: $vgpr2
                                        ; implicit-def: $vgpr1
                                        ; implicit-def: $vgpr0
.LBB1_11:
	s_and_not1_b32 vcc_lo, exec_lo, s31
	s_cbranch_vccnz .LBB1_14
; %bb.12:
	v_mul_hi_u32 v0, s6, v6
	s_and_not1_b32 vcc_lo, exec_lo, s11
	s_delay_alu instid0(VALU_DEP_1) | instskip(NEXT) | instid1(VALU_DEP_1)
	v_add_nc_u32_e32 v0, v6, v0
	v_lshrrev_b32_e32 v3, s7, v0
	s_delay_alu instid0(VALU_DEP_1) | instskip(NEXT) | instid1(VALU_DEP_1)
	v_mul_lo_u32 v0, v3, s5
	v_sub_nc_u32_e32 v0, v6, v0
	s_delay_alu instid0(VALU_DEP_1)
	v_mul_lo_u32 v2, v0, s24
	v_mul_lo_u32 v1, v0, s25
	;; [unrolled: 1-line block ×3, first 2 shown]
	s_cbranch_vccnz .LBB1_14
; %bb.13:
	v_mul_hi_u32 v4, s9, v3
	s_delay_alu instid0(VALU_DEP_1) | instskip(NEXT) | instid1(VALU_DEP_1)
	v_add_nc_u32_e32 v4, v3, v4
	v_lshrrev_b32_e32 v4, s10, v4
	s_delay_alu instid0(VALU_DEP_1) | instskip(NEXT) | instid1(VALU_DEP_1)
	v_mul_lo_u32 v4, v4, s8
	v_sub_nc_u32_e32 v10, v3, v4
	s_delay_alu instid0(VALU_DEP_1) | instskip(SKIP_2) | instid1(VALU_DEP_2)
	v_mad_u64_u32 v[3:4], null, v10, s27, v[2:3]
	v_mad_u64_u32 v[4:5], null, v10, s12, v[1:2]
	;; [unrolled: 1-line block ×3, first 2 shown]
	v_dual_mov_b32 v2, v3 :: v_dual_mov_b32 v1, v4
	s_delay_alu instid0(VALU_DEP_2)
	v_mov_b32_e32 v0, v8
.LBB1_14:
	s_and_not1_b32 vcc_lo, exec_lo, s4
	s_cbranch_vccnz .LBB1_17
; %bb.15:
	global_load_u8 v8, v2, s[20:21]
	v_add_co_u32 v2, s14, s20, v2
	s_delay_alu instid0(VALU_DEP_1) | instskip(SKIP_1) | instid1(VALU_DEP_1)
	v_add_co_ci_u32_e64 v3, null, s21, 0, s14
	v_add_co_u32 v4, s14, s22, v1
	v_add_co_ci_u32_e64 v5, null, s23, 0, s14
	v_add_co_u32 v0, s14, s2, v0
	s_delay_alu instid0(VALU_DEP_1)
	v_add_co_ci_u32_e64 v1, null, s3, 0, s14
	s_ashr_i32 s14, s18, 31
	s_ashr_i32 s15, s17, 31
	s_mov_b32 s31, s17
	s_mov_b32 s33, s16
	.p2align	6
.LBB1_16:                               ; =>This Inner Loop Header: Depth=1
	global_load_u8 v9, v[4:5], off
	global_load_u8 v10, v[0:1], off
	v_add_co_u32 v0, vcc_lo, v0, s18
	v_add_co_ci_u32_e32 v1, vcc_lo, s14, v1, vcc_lo
	v_add_co_u32 v4, vcc_lo, v4, s31
	v_add_co_ci_u32_e32 v5, vcc_lo, s15, v5, vcc_lo
	s_add_i32 s33, s33, -1
	s_delay_alu instid0(SALU_CYCLE_1)
	s_cmp_lg_u32 s33, 0
	s_waitcnt vmcnt(0)
	v_mad_u16 v8, v10, v9, v8
	global_store_b8 v[2:3], v8, off
	s_cbranch_scc1 .LBB1_16
.LBB1_17:
	v_add_nc_u32_e32 v6, 0x100, v6
	s_or_b32 exec_lo, exec_lo, s30
	s_delay_alu instid0(SALU_CYCLE_1) | instskip(NEXT) | instid1(VALU_DEP_1)
	s_mov_b32 s30, exec_lo
	v_cmpx_gt_i32_e64 s28, v6
	s_cbranch_execz .LBB1_2
.LBB1_18:
	v_cmp_ne_u32_e32 vcc_lo, 1, v7
	s_cbranch_vccnz .LBB1_24
; %bb.19:
	v_dual_mov_b32 v2, 0 :: v_dual_mov_b32 v1, 0
	v_mov_b32_e32 v0, 0
	s_and_not1_b32 vcc_lo, exec_lo, s29
	s_mov_b32 s31, 0
	s_cbranch_vccnz .LBB1_25
; %bb.20:
	s_add_i32 s14, s19, 1
	v_dual_mov_b32 v0, 0 :: v_dual_mov_b32 v1, 0
	v_dual_mov_b32 v2, 0 :: v_dual_mov_b32 v3, v6
	s_and_b32 s33, s14, 30
	s_add_u32 s14, s0, 0xffffffec
	s_addc_u32 s15, s1, -1
	s_set_inst_prefetch_distance 0x1
	.p2align	6
.LBB1_21:                               ; =>This Inner Loop Header: Depth=1
	s_clause 0x2
	s_load_b128 s[36:39], s[14:15], 0x18
	s_load_b64 s[34:35], s[14:15], 0x28
	s_load_b128 s[40:43], s[14:15], 0xd8
	s_waitcnt lgkmcnt(0)
	v_mul_hi_u32 v4, s37, v3
	s_delay_alu instid0(VALU_DEP_1) | instskip(NEXT) | instid1(VALU_DEP_1)
	v_add_nc_u32_e32 v4, v3, v4
	v_lshrrev_b32_e32 v4, s38, v4
	s_delay_alu instid0(VALU_DEP_1)
	v_mul_hi_u32 v5, s34, v4
	v_mul_lo_u32 v8, v4, s36
	s_load_b64 s[36:37], s[14:15], 0xe8
	s_add_u32 s14, s14, 24
	s_addc_u32 s15, s15, 0
	s_add_i32 s33, s33, -2
	s_delay_alu instid0(SALU_CYCLE_1) | instskip(NEXT) | instid1(VALU_DEP_2)
	s_cmp_eq_u32 s33, 0
	v_add_nc_u32_e32 v5, v4, v5
	s_delay_alu instid0(VALU_DEP_2) | instskip(NEXT) | instid1(VALU_DEP_2)
	v_sub_nc_u32_e32 v8, v3, v8
	v_lshrrev_b32_e32 v3, s35, v5
	s_delay_alu instid0(VALU_DEP_2) | instskip(NEXT) | instid1(VALU_DEP_2)
	v_mul_lo_u32 v9, v8, s40
	v_mul_lo_u32 v5, v3, s39
	s_delay_alu instid0(VALU_DEP_1) | instskip(SKIP_2) | instid1(VALU_DEP_3)
	v_sub_nc_u32_e32 v4, v4, v5
	v_mul_lo_u32 v5, v8, s41
	v_mul_lo_u32 v8, v8, s42
	v_mul_lo_u32 v10, v4, s43
	s_waitcnt lgkmcnt(0)
	v_mul_lo_u32 v11, v4, s36
	v_mul_lo_u32 v4, v4, s37
	s_delay_alu instid0(VALU_DEP_3) | instskip(NEXT) | instid1(VALU_DEP_3)
	v_add3_u32 v2, v9, v2, v10
	v_add3_u32 v1, v5, v1, v11
	s_delay_alu instid0(VALU_DEP_3)
	v_add3_u32 v0, v8, v0, v4
	s_cbranch_scc0 .LBB1_21
; %bb.22:
	s_set_inst_prefetch_distance 0x2
	s_bitcmp1_b32 s19, 0
	s_cselect_b32 s33, -1, 0
	s_delay_alu instid0(SALU_CYCLE_1)
	s_and_b32 vcc_lo, exec_lo, s33
	s_cbranch_vccnz .LBB1_25
; %bb.23:
	s_clause 0x3
	s_load_b64 s[34:35], s[14:15], 0x18
	s_load_b32 s33, s[14:15], 0x20
	s_load_b64 s[36:37], s[14:15], 0xd8
	s_load_b32 s14, s[14:15], 0xe0
	s_waitcnt lgkmcnt(0)
	v_mul_hi_u32 v4, s35, v3
	s_delay_alu instid0(VALU_DEP_1) | instskip(NEXT) | instid1(VALU_DEP_1)
	v_add_nc_u32_e32 v4, v3, v4
	v_lshrrev_b32_e32 v4, s33, v4
	s_delay_alu instid0(VALU_DEP_1) | instskip(NEXT) | instid1(VALU_DEP_1)
	v_mul_lo_u32 v4, v4, s34
	v_sub_nc_u32_e32 v10, v3, v4
	s_delay_alu instid0(VALU_DEP_1) | instskip(SKIP_2) | instid1(VALU_DEP_2)
	v_mad_u64_u32 v[3:4], null, v10, s36, v[2:3]
	v_mad_u64_u32 v[4:5], null, v10, s37, v[1:2]
	;; [unrolled: 1-line block ×3, first 2 shown]
	v_dual_mov_b32 v2, v3 :: v_dual_mov_b32 v1, v4
	s_delay_alu instid0(VALU_DEP_2)
	v_mov_b32_e32 v0, v8
	s_branch .LBB1_25
.LBB1_24:
	s_mov_b32 s31, -1
                                        ; implicit-def: $vgpr2
                                        ; implicit-def: $vgpr1
                                        ; implicit-def: $vgpr0
.LBB1_25:
	s_delay_alu instid0(SALU_CYCLE_1)
	s_and_not1_b32 vcc_lo, exec_lo, s31
	s_cbranch_vccnz .LBB1_28
; %bb.26:
	v_mul_hi_u32 v0, s6, v6
	s_and_not1_b32 vcc_lo, exec_lo, s11
	s_delay_alu instid0(VALU_DEP_1) | instskip(NEXT) | instid1(VALU_DEP_1)
	v_add_nc_u32_e32 v0, v6, v0
	v_lshrrev_b32_e32 v3, s7, v0
	s_delay_alu instid0(VALU_DEP_1) | instskip(NEXT) | instid1(VALU_DEP_1)
	v_mul_lo_u32 v0, v3, s5
	v_sub_nc_u32_e32 v0, v6, v0
	s_delay_alu instid0(VALU_DEP_1)
	v_mul_lo_u32 v2, v0, s24
	v_mul_lo_u32 v1, v0, s25
	;; [unrolled: 1-line block ×3, first 2 shown]
	s_cbranch_vccnz .LBB1_28
; %bb.27:
	v_mul_hi_u32 v4, s9, v3
	s_delay_alu instid0(VALU_DEP_1) | instskip(NEXT) | instid1(VALU_DEP_1)
	v_add_nc_u32_e32 v4, v3, v4
	v_lshrrev_b32_e32 v4, s10, v4
	s_delay_alu instid0(VALU_DEP_1) | instskip(NEXT) | instid1(VALU_DEP_1)
	v_mul_lo_u32 v4, v4, s8
	v_sub_nc_u32_e32 v10, v3, v4
	s_delay_alu instid0(VALU_DEP_1) | instskip(SKIP_2) | instid1(VALU_DEP_2)
	v_mad_u64_u32 v[3:4], null, v10, s27, v[2:3]
	v_mad_u64_u32 v[4:5], null, v10, s12, v[1:2]
	;; [unrolled: 1-line block ×3, first 2 shown]
	v_dual_mov_b32 v2, v3 :: v_dual_mov_b32 v1, v4
	s_delay_alu instid0(VALU_DEP_2)
	v_mov_b32_e32 v0, v8
.LBB1_28:
	s_and_not1_b32 vcc_lo, exec_lo, s4
	s_cbranch_vccnz .LBB1_31
; %bb.29:
	global_load_u8 v8, v2, s[20:21]
	v_add_co_u32 v2, s14, s20, v2
	s_delay_alu instid0(VALU_DEP_1) | instskip(SKIP_1) | instid1(VALU_DEP_1)
	v_add_co_ci_u32_e64 v3, null, s21, 0, s14
	v_add_co_u32 v4, s14, s22, v1
	v_add_co_ci_u32_e64 v5, null, s23, 0, s14
	v_add_co_u32 v0, s14, s2, v0
	s_delay_alu instid0(VALU_DEP_1)
	v_add_co_ci_u32_e64 v1, null, s3, 0, s14
	s_ashr_i32 s14, s18, 31
	s_ashr_i32 s15, s17, 31
	s_mov_b32 s31, s17
	s_mov_b32 s33, s16
	.p2align	6
.LBB1_30:                               ; =>This Inner Loop Header: Depth=1
	global_load_u8 v9, v[4:5], off
	global_load_u8 v10, v[0:1], off
	v_add_co_u32 v0, vcc_lo, v0, s18
	v_add_co_ci_u32_e32 v1, vcc_lo, s14, v1, vcc_lo
	v_add_co_u32 v4, vcc_lo, v4, s31
	v_add_co_ci_u32_e32 v5, vcc_lo, s15, v5, vcc_lo
	s_add_i32 s33, s33, -1
	s_delay_alu instid0(SALU_CYCLE_1)
	s_cmp_lg_u32 s33, 0
	s_waitcnt vmcnt(0)
	v_mad_u16 v8, v10, v9, v8
	global_store_b8 v[2:3], v8, off
	s_cbranch_scc1 .LBB1_30
.LBB1_31:
	v_add_nc_u32_e32 v6, 0x100, v6
	s_or_b32 exec_lo, exec_lo, s30
	s_delay_alu instid0(SALU_CYCLE_1) | instskip(NEXT) | instid1(VALU_DEP_1)
	s_mov_b32 s30, exec_lo
	v_cmpx_gt_i32_e64 s28, v6
	s_cbranch_execz .LBB1_3
.LBB1_32:
	v_cmp_ne_u32_e32 vcc_lo, 1, v7
	s_cbranch_vccnz .LBB1_38
; %bb.33:
	v_dual_mov_b32 v2, 0 :: v_dual_mov_b32 v1, 0
	v_mov_b32_e32 v0, 0
	s_and_not1_b32 vcc_lo, exec_lo, s29
	s_mov_b32 s31, 0
	s_cbranch_vccnz .LBB1_39
; %bb.34:
	s_add_i32 s14, s19, 1
	v_dual_mov_b32 v0, 0 :: v_dual_mov_b32 v1, 0
	v_dual_mov_b32 v2, 0 :: v_dual_mov_b32 v3, v6
	s_and_b32 s33, s14, 30
	s_add_u32 s14, s0, 0xffffffec
	s_addc_u32 s15, s1, -1
	s_set_inst_prefetch_distance 0x1
	.p2align	6
.LBB1_35:                               ; =>This Inner Loop Header: Depth=1
	s_clause 0x2
	s_load_b128 s[36:39], s[14:15], 0x18
	s_load_b64 s[34:35], s[14:15], 0x28
	s_load_b128 s[40:43], s[14:15], 0xd8
	s_waitcnt lgkmcnt(0)
	v_mul_hi_u32 v4, s37, v3
	s_delay_alu instid0(VALU_DEP_1) | instskip(NEXT) | instid1(VALU_DEP_1)
	v_add_nc_u32_e32 v4, v3, v4
	v_lshrrev_b32_e32 v4, s38, v4
	s_delay_alu instid0(VALU_DEP_1)
	v_mul_hi_u32 v5, s34, v4
	v_mul_lo_u32 v8, v4, s36
	s_load_b64 s[36:37], s[14:15], 0xe8
	s_add_u32 s14, s14, 24
	s_addc_u32 s15, s15, 0
	s_add_i32 s33, s33, -2
	s_delay_alu instid0(SALU_CYCLE_1) | instskip(NEXT) | instid1(VALU_DEP_2)
	s_cmp_eq_u32 s33, 0
	v_add_nc_u32_e32 v5, v4, v5
	s_delay_alu instid0(VALU_DEP_2) | instskip(NEXT) | instid1(VALU_DEP_2)
	v_sub_nc_u32_e32 v8, v3, v8
	v_lshrrev_b32_e32 v3, s35, v5
	s_delay_alu instid0(VALU_DEP_2) | instskip(NEXT) | instid1(VALU_DEP_2)
	v_mul_lo_u32 v9, v8, s40
	v_mul_lo_u32 v5, v3, s39
	s_delay_alu instid0(VALU_DEP_1) | instskip(SKIP_2) | instid1(VALU_DEP_3)
	v_sub_nc_u32_e32 v4, v4, v5
	v_mul_lo_u32 v5, v8, s41
	v_mul_lo_u32 v8, v8, s42
	;; [unrolled: 1-line block ×3, first 2 shown]
	s_waitcnt lgkmcnt(0)
	v_mul_lo_u32 v11, v4, s36
	v_mul_lo_u32 v4, v4, s37
	s_delay_alu instid0(VALU_DEP_3) | instskip(NEXT) | instid1(VALU_DEP_3)
	v_add3_u32 v2, v9, v2, v10
	v_add3_u32 v1, v5, v1, v11
	s_delay_alu instid0(VALU_DEP_3)
	v_add3_u32 v0, v8, v0, v4
	s_cbranch_scc0 .LBB1_35
; %bb.36:
	s_set_inst_prefetch_distance 0x2
	s_bitcmp1_b32 s19, 0
	s_cselect_b32 s33, -1, 0
	s_delay_alu instid0(SALU_CYCLE_1)
	s_and_b32 vcc_lo, exec_lo, s33
	s_cbranch_vccnz .LBB1_39
; %bb.37:
	s_clause 0x3
	s_load_b64 s[34:35], s[14:15], 0x18
	s_load_b32 s33, s[14:15], 0x20
	s_load_b64 s[36:37], s[14:15], 0xd8
	s_load_b32 s14, s[14:15], 0xe0
	s_waitcnt lgkmcnt(0)
	v_mul_hi_u32 v4, s35, v3
	s_delay_alu instid0(VALU_DEP_1) | instskip(NEXT) | instid1(VALU_DEP_1)
	v_add_nc_u32_e32 v4, v3, v4
	v_lshrrev_b32_e32 v4, s33, v4
	s_delay_alu instid0(VALU_DEP_1) | instskip(NEXT) | instid1(VALU_DEP_1)
	v_mul_lo_u32 v4, v4, s34
	v_sub_nc_u32_e32 v10, v3, v4
	s_delay_alu instid0(VALU_DEP_1) | instskip(SKIP_2) | instid1(VALU_DEP_2)
	v_mad_u64_u32 v[3:4], null, v10, s36, v[2:3]
	v_mad_u64_u32 v[4:5], null, v10, s37, v[1:2]
	;; [unrolled: 1-line block ×3, first 2 shown]
	v_dual_mov_b32 v2, v3 :: v_dual_mov_b32 v1, v4
	s_delay_alu instid0(VALU_DEP_2)
	v_mov_b32_e32 v0, v8
	s_branch .LBB1_39
.LBB1_38:
	s_mov_b32 s31, -1
                                        ; implicit-def: $vgpr2
                                        ; implicit-def: $vgpr1
                                        ; implicit-def: $vgpr0
.LBB1_39:
	s_delay_alu instid0(SALU_CYCLE_1)
	s_and_not1_b32 vcc_lo, exec_lo, s31
	s_cbranch_vccnz .LBB1_42
; %bb.40:
	v_mul_hi_u32 v0, s6, v6
	s_and_not1_b32 vcc_lo, exec_lo, s11
	s_delay_alu instid0(VALU_DEP_1) | instskip(NEXT) | instid1(VALU_DEP_1)
	v_add_nc_u32_e32 v0, v6, v0
	v_lshrrev_b32_e32 v3, s7, v0
	s_delay_alu instid0(VALU_DEP_1) | instskip(NEXT) | instid1(VALU_DEP_1)
	v_mul_lo_u32 v0, v3, s5
	v_sub_nc_u32_e32 v0, v6, v0
	s_delay_alu instid0(VALU_DEP_1)
	v_mul_lo_u32 v2, v0, s24
	v_mul_lo_u32 v1, v0, s25
	;; [unrolled: 1-line block ×3, first 2 shown]
	s_cbranch_vccnz .LBB1_42
; %bb.41:
	v_mul_hi_u32 v4, s9, v3
	s_delay_alu instid0(VALU_DEP_1) | instskip(NEXT) | instid1(VALU_DEP_1)
	v_add_nc_u32_e32 v4, v3, v4
	v_lshrrev_b32_e32 v4, s10, v4
	s_delay_alu instid0(VALU_DEP_1) | instskip(NEXT) | instid1(VALU_DEP_1)
	v_mul_lo_u32 v4, v4, s8
	v_sub_nc_u32_e32 v10, v3, v4
	s_delay_alu instid0(VALU_DEP_1) | instskip(SKIP_2) | instid1(VALU_DEP_2)
	v_mad_u64_u32 v[3:4], null, v10, s27, v[2:3]
	v_mad_u64_u32 v[4:5], null, v10, s12, v[1:2]
	;; [unrolled: 1-line block ×3, first 2 shown]
	v_dual_mov_b32 v2, v3 :: v_dual_mov_b32 v1, v4
	s_delay_alu instid0(VALU_DEP_2)
	v_mov_b32_e32 v0, v8
.LBB1_42:
	s_and_not1_b32 vcc_lo, exec_lo, s4
	s_cbranch_vccnz .LBB1_45
; %bb.43:
	global_load_u8 v8, v2, s[20:21]
	v_add_co_u32 v2, s14, s20, v2
	s_delay_alu instid0(VALU_DEP_1) | instskip(SKIP_1) | instid1(VALU_DEP_1)
	v_add_co_ci_u32_e64 v3, null, s21, 0, s14
	v_add_co_u32 v4, s14, s22, v1
	v_add_co_ci_u32_e64 v5, null, s23, 0, s14
	v_add_co_u32 v0, s14, s2, v0
	s_delay_alu instid0(VALU_DEP_1)
	v_add_co_ci_u32_e64 v1, null, s3, 0, s14
	s_ashr_i32 s14, s18, 31
	s_ashr_i32 s15, s17, 31
	s_mov_b32 s31, s17
	s_mov_b32 s33, s16
	.p2align	6
.LBB1_44:                               ; =>This Inner Loop Header: Depth=1
	global_load_u8 v9, v[4:5], off
	global_load_u8 v10, v[0:1], off
	v_add_co_u32 v0, vcc_lo, v0, s18
	v_add_co_ci_u32_e32 v1, vcc_lo, s14, v1, vcc_lo
	v_add_co_u32 v4, vcc_lo, v4, s31
	v_add_co_ci_u32_e32 v5, vcc_lo, s15, v5, vcc_lo
	s_add_i32 s33, s33, -1
	s_delay_alu instid0(SALU_CYCLE_1)
	s_cmp_lg_u32 s33, 0
	s_waitcnt vmcnt(0)
	v_mad_u16 v8, v10, v9, v8
	global_store_b8 v[2:3], v8, off
	s_cbranch_scc1 .LBB1_44
.LBB1_45:
	v_add_nc_u32_e32 v6, 0x100, v6
	s_or_b32 exec_lo, exec_lo, s30
	s_delay_alu instid0(SALU_CYCLE_1) | instskip(NEXT) | instid1(VALU_DEP_1)
	s_mov_b32 s14, exec_lo
	v_cmpx_gt_i32_e64 s28, v6
	s_cbranch_execz .LBB1_59
.LBB1_46:
	v_cmp_ne_u32_e32 vcc_lo, 1, v7
	s_cbranch_vccnz .LBB1_52
; %bb.47:
	v_dual_mov_b32 v2, 0 :: v_dual_mov_b32 v1, 0
	v_mov_b32_e32 v0, 0
	s_and_not1_b32 vcc_lo, exec_lo, s29
	s_mov_b32 s14, 0
	s_cbranch_vccnz .LBB1_53
; %bb.48:
	s_add_i32 s15, s19, 1
	v_dual_mov_b32 v0, 0 :: v_dual_mov_b32 v1, 0
	v_dual_mov_b32 v2, 0 :: v_dual_mov_b32 v3, v6
	s_and_b32 s15, s15, 30
	s_add_u32 s0, s0, 0xffffffec
	s_addc_u32 s1, s1, -1
	s_set_inst_prefetch_distance 0x1
	.p2align	6
.LBB1_49:                               ; =>This Inner Loop Header: Depth=1
	s_clause 0x2
	s_load_b128 s[28:31], s[0:1], 0x18
	s_load_b64 s[34:35], s[0:1], 0x28
	s_load_b128 s[36:39], s[0:1], 0xd8
	s_waitcnt lgkmcnt(0)
	v_mul_hi_u32 v4, s29, v3
	s_delay_alu instid0(VALU_DEP_1) | instskip(NEXT) | instid1(VALU_DEP_1)
	v_add_nc_u32_e32 v4, v3, v4
	v_lshrrev_b32_e32 v4, s30, v4
	s_delay_alu instid0(VALU_DEP_1)
	v_mul_hi_u32 v5, s34, v4
	v_mul_lo_u32 v7, v4, s28
	s_load_b64 s[28:29], s[0:1], 0xe8
	s_add_u32 s0, s0, 24
	s_addc_u32 s1, s1, 0
	s_add_i32 s15, s15, -2
	s_delay_alu instid0(SALU_CYCLE_1) | instskip(NEXT) | instid1(VALU_DEP_2)
	s_cmp_eq_u32 s15, 0
	v_add_nc_u32_e32 v5, v4, v5
	s_delay_alu instid0(VALU_DEP_2) | instskip(NEXT) | instid1(VALU_DEP_2)
	v_sub_nc_u32_e32 v7, v3, v7
	v_lshrrev_b32_e32 v3, s35, v5
	s_delay_alu instid0(VALU_DEP_2) | instskip(NEXT) | instid1(VALU_DEP_2)
	v_mul_lo_u32 v8, v7, s36
	v_mul_lo_u32 v5, v3, s31
	s_delay_alu instid0(VALU_DEP_1) | instskip(SKIP_2) | instid1(VALU_DEP_3)
	v_sub_nc_u32_e32 v4, v4, v5
	v_mul_lo_u32 v5, v7, s37
	v_mul_lo_u32 v7, v7, s38
	;; [unrolled: 1-line block ×3, first 2 shown]
	s_waitcnt lgkmcnt(0)
	v_mul_lo_u32 v10, v4, s28
	v_mul_lo_u32 v4, v4, s29
	s_delay_alu instid0(VALU_DEP_3) | instskip(NEXT) | instid1(VALU_DEP_3)
	v_add3_u32 v2, v8, v2, v9
	v_add3_u32 v1, v5, v1, v10
	s_delay_alu instid0(VALU_DEP_3)
	v_add3_u32 v0, v7, v0, v4
	s_cbranch_scc0 .LBB1_49
; %bb.50:
	s_set_inst_prefetch_distance 0x2
	s_bitcmp1_b32 s19, 0
	s_cselect_b32 s15, -1, 0
	s_delay_alu instid0(SALU_CYCLE_1)
	s_and_b32 vcc_lo, exec_lo, s15
	s_cbranch_vccnz .LBB1_53
; %bb.51:
	s_clause 0x3
	s_load_b64 s[28:29], s[0:1], 0x18
	s_load_b32 s15, s[0:1], 0x20
	s_load_b64 s[30:31], s[0:1], 0xd8
	s_load_b32 s0, s[0:1], 0xe0
	s_waitcnt lgkmcnt(0)
	v_mul_hi_u32 v4, s29, v3
	s_delay_alu instid0(VALU_DEP_1) | instskip(NEXT) | instid1(VALU_DEP_1)
	v_add_nc_u32_e32 v4, v3, v4
	v_lshrrev_b32_e32 v4, s15, v4
	s_delay_alu instid0(VALU_DEP_1) | instskip(NEXT) | instid1(VALU_DEP_1)
	v_mul_lo_u32 v4, v4, s28
	v_sub_nc_u32_e32 v9, v3, v4
	s_delay_alu instid0(VALU_DEP_1) | instskip(SKIP_2) | instid1(VALU_DEP_2)
	v_mad_u64_u32 v[3:4], null, v9, s30, v[2:3]
	v_mad_u64_u32 v[4:5], null, v9, s31, v[1:2]
	v_mad_u64_u32 v[7:8], null, v9, s0, v[0:1]
	v_dual_mov_b32 v2, v3 :: v_dual_mov_b32 v1, v4
	s_delay_alu instid0(VALU_DEP_2)
	v_mov_b32_e32 v0, v7
	s_branch .LBB1_53
.LBB1_52:
	s_mov_b32 s14, -1
                                        ; implicit-def: $vgpr2
                                        ; implicit-def: $vgpr1
                                        ; implicit-def: $vgpr0
.LBB1_53:
	s_delay_alu instid0(SALU_CYCLE_1)
	s_and_not1_b32 vcc_lo, exec_lo, s14
	s_cbranch_vccnz .LBB1_56
; %bb.54:
	v_mul_hi_u32 v0, s6, v6
	s_and_not1_b32 vcc_lo, exec_lo, s11
	s_delay_alu instid0(VALU_DEP_1) | instskip(NEXT) | instid1(VALU_DEP_1)
	v_add_nc_u32_e32 v0, v6, v0
	v_lshrrev_b32_e32 v3, s7, v0
	s_delay_alu instid0(VALU_DEP_1) | instskip(NEXT) | instid1(VALU_DEP_1)
	v_mul_lo_u32 v0, v3, s5
	v_sub_nc_u32_e32 v0, v6, v0
	s_delay_alu instid0(VALU_DEP_1)
	v_mul_lo_u32 v2, v0, s24
	v_mul_lo_u32 v1, v0, s25
	;; [unrolled: 1-line block ×3, first 2 shown]
	s_cbranch_vccnz .LBB1_56
; %bb.55:
	v_mul_hi_u32 v4, s9, v3
	s_delay_alu instid0(VALU_DEP_1) | instskip(NEXT) | instid1(VALU_DEP_1)
	v_add_nc_u32_e32 v4, v3, v4
	v_lshrrev_b32_e32 v4, s10, v4
	s_delay_alu instid0(VALU_DEP_1) | instskip(NEXT) | instid1(VALU_DEP_1)
	v_mul_lo_u32 v4, v4, s8
	v_sub_nc_u32_e32 v7, v3, v4
	s_delay_alu instid0(VALU_DEP_1) | instskip(SKIP_2) | instid1(VALU_DEP_2)
	v_mad_u64_u32 v[3:4], null, v7, s27, v[2:3]
	v_mad_u64_u32 v[4:5], null, v7, s12, v[1:2]
	;; [unrolled: 1-line block ×3, first 2 shown]
	v_dual_mov_b32 v2, v3 :: v_dual_mov_b32 v1, v4
	s_delay_alu instid0(VALU_DEP_2)
	v_mov_b32_e32 v0, v5
.LBB1_56:
	s_and_not1_b32 vcc_lo, exec_lo, s4
	s_cbranch_vccnz .LBB1_59
; %bb.57:
	global_load_u8 v6, v2, s[20:21]
	v_add_co_u32 v2, s0, s20, v2
	s_delay_alu instid0(VALU_DEP_1) | instskip(SKIP_1) | instid1(VALU_DEP_1)
	v_add_co_ci_u32_e64 v3, null, s21, 0, s0
	v_add_co_u32 v4, s0, s22, v1
	v_add_co_ci_u32_e64 v5, null, s23, 0, s0
	v_add_co_u32 v0, s0, s2, v0
	s_delay_alu instid0(VALU_DEP_1)
	v_add_co_ci_u32_e64 v1, null, s3, 0, s0
	s_ashr_i32 s0, s18, 31
	s_ashr_i32 s1, s17, 31
	s_mov_b32 s2, s17
	.p2align	6
.LBB1_58:                               ; =>This Inner Loop Header: Depth=1
	global_load_u8 v7, v[4:5], off
	global_load_u8 v8, v[0:1], off
	v_add_co_u32 v0, vcc_lo, v0, s18
	v_add_co_ci_u32_e32 v1, vcc_lo, s0, v1, vcc_lo
	v_add_co_u32 v4, vcc_lo, v4, s2
	v_add_co_ci_u32_e32 v5, vcc_lo, s1, v5, vcc_lo
	s_add_i32 s16, s16, -1
	s_delay_alu instid0(SALU_CYCLE_1)
	s_cmp_lg_u32 s16, 0
	s_waitcnt vmcnt(0)
	v_mad_u16 v6, v8, v7, v6
	global_store_b8 v[2:3], v6, off
	s_cbranch_scc1 .LBB1_58
.LBB1_59:
	s_nop 0
	s_sendmsg sendmsg(MSG_DEALLOC_VGPRS)
	s_endpgm
	.section	.rodata,"a",@progbits
	.p2align	6, 0x0
	.amdhsa_kernel _ZN2at6native12_GLOBAL__N_116_elemwise_kernelILi256ELi4EZNS1_43_compute_linear_combination_internal_kernelIaEEvRNS_14TensorIteratorEiiiEUliE_EEviT1_
		.amdhsa_group_segment_fixed_size 0
		.amdhsa_private_segment_fixed_size 0
		.amdhsa_kernarg_size 440
		.amdhsa_user_sgpr_count 15
		.amdhsa_user_sgpr_dispatch_ptr 0
		.amdhsa_user_sgpr_queue_ptr 0
		.amdhsa_user_sgpr_kernarg_segment_ptr 1
		.amdhsa_user_sgpr_dispatch_id 0
		.amdhsa_user_sgpr_private_segment_size 0
		.amdhsa_wavefront_size32 1
		.amdhsa_uses_dynamic_stack 0
		.amdhsa_enable_private_segment 0
		.amdhsa_system_sgpr_workgroup_id_x 1
		.amdhsa_system_sgpr_workgroup_id_y 0
		.amdhsa_system_sgpr_workgroup_id_z 0
		.amdhsa_system_sgpr_workgroup_info 0
		.amdhsa_system_vgpr_workitem_id 0
		.amdhsa_next_free_vgpr 12
		.amdhsa_next_free_sgpr 44
		.amdhsa_reserve_vcc 1
		.amdhsa_float_round_mode_32 0
		.amdhsa_float_round_mode_16_64 0
		.amdhsa_float_denorm_mode_32 3
		.amdhsa_float_denorm_mode_16_64 3
		.amdhsa_dx10_clamp 1
		.amdhsa_ieee_mode 1
		.amdhsa_fp16_overflow 0
		.amdhsa_workgroup_processor_mode 1
		.amdhsa_memory_ordered 1
		.amdhsa_forward_progress 0
		.amdhsa_shared_vgpr_count 0
		.amdhsa_exception_fp_ieee_invalid_op 0
		.amdhsa_exception_fp_denorm_src 0
		.amdhsa_exception_fp_ieee_div_zero 0
		.amdhsa_exception_fp_ieee_overflow 0
		.amdhsa_exception_fp_ieee_underflow 0
		.amdhsa_exception_fp_ieee_inexact 0
		.amdhsa_exception_int_div_zero 0
	.end_amdhsa_kernel
	.section	.text._ZN2at6native12_GLOBAL__N_116_elemwise_kernelILi256ELi4EZNS1_43_compute_linear_combination_internal_kernelIaEEvRNS_14TensorIteratorEiiiEUliE_EEviT1_,"axG",@progbits,_ZN2at6native12_GLOBAL__N_116_elemwise_kernelILi256ELi4EZNS1_43_compute_linear_combination_internal_kernelIaEEvRNS_14TensorIteratorEiiiEUliE_EEviT1_,comdat
.Lfunc_end1:
	.size	_ZN2at6native12_GLOBAL__N_116_elemwise_kernelILi256ELi4EZNS1_43_compute_linear_combination_internal_kernelIaEEvRNS_14TensorIteratorEiiiEUliE_EEviT1_, .Lfunc_end1-_ZN2at6native12_GLOBAL__N_116_elemwise_kernelILi256ELi4EZNS1_43_compute_linear_combination_internal_kernelIaEEvRNS_14TensorIteratorEiiiEUliE_EEviT1_
                                        ; -- End function
	.section	.AMDGPU.csdata,"",@progbits
; Kernel info:
; codeLenInByte = 3424
; NumSgprs: 46
; NumVgprs: 12
; ScratchSize: 0
; MemoryBound: 0
; FloatMode: 240
; IeeeMode: 1
; LDSByteSize: 0 bytes/workgroup (compile time only)
; SGPRBlocks: 5
; VGPRBlocks: 1
; NumSGPRsForWavesPerEU: 46
; NumVGPRsForWavesPerEU: 12
; Occupancy: 16
; WaveLimiterHint : 1
; COMPUTE_PGM_RSRC2:SCRATCH_EN: 0
; COMPUTE_PGM_RSRC2:USER_SGPR: 15
; COMPUTE_PGM_RSRC2:TRAP_HANDLER: 0
; COMPUTE_PGM_RSRC2:TGID_X_EN: 1
; COMPUTE_PGM_RSRC2:TGID_Y_EN: 0
; COMPUTE_PGM_RSRC2:TGID_Z_EN: 0
; COMPUTE_PGM_RSRC2:TIDIG_COMP_CNT: 0
	.section	.text._ZN2at6native12_GLOBAL__N_116_elemwise_kernelILi256ELi4EZNS1_43_compute_linear_combination_internal_kernelIiEEvRNS_14TensorIteratorEiiiEUliE_EEviT1_,"axG",@progbits,_ZN2at6native12_GLOBAL__N_116_elemwise_kernelILi256ELi4EZNS1_43_compute_linear_combination_internal_kernelIiEEvRNS_14TensorIteratorEiiiEUliE_EEviT1_,comdat
	.globl	_ZN2at6native12_GLOBAL__N_116_elemwise_kernelILi256ELi4EZNS1_43_compute_linear_combination_internal_kernelIiEEvRNS_14TensorIteratorEiiiEUliE_EEviT1_ ; -- Begin function _ZN2at6native12_GLOBAL__N_116_elemwise_kernelILi256ELi4EZNS1_43_compute_linear_combination_internal_kernelIiEEvRNS_14TensorIteratorEiiiEUliE_EEviT1_
	.p2align	8
	.type	_ZN2at6native12_GLOBAL__N_116_elemwise_kernelILi256ELi4EZNS1_43_compute_linear_combination_internal_kernelIiEEvRNS_14TensorIteratorEiiiEUliE_EEviT1_,@function
_ZN2at6native12_GLOBAL__N_116_elemwise_kernelILi256ELi4EZNS1_43_compute_linear_combination_internal_kernelIiEEvRNS_14TensorIteratorEiiiEUliE_EEviT1_: ; @_ZN2at6native12_GLOBAL__N_116_elemwise_kernelILi256ELi4EZNS1_43_compute_linear_combination_internal_kernelIiEEvRNS_14TensorIteratorEiiiEUliE_EEviT1_
; %bb.0:
	s_clause 0x6
	s_load_b256 s[4:11], s[0:1], 0x8
	s_load_b32 s31, s[0:1], 0x0
	s_load_b128 s[16:19], s[0:1], 0x1a8
	s_load_b128 s[24:27], s[0:1], 0xcc
	s_load_b64 s[12:13], s[0:1], 0xdc
	s_load_b64 s[2:3], s[0:1], 0x1a0
	s_load_b128 s[20:23], s[0:1], 0x190
	s_or_b32 s0, s0, 8
	v_lshl_or_b32 v7, s15, 10, v0
	s_waitcnt lgkmcnt(0)
	s_mov_b32 s19, -1
	s_mov_b32 s34, exec_lo
	s_add_i32 s11, s4, -1
	s_delay_alu instid0(SALU_CYCLE_1)
	s_cmp_gt_u32 s11, 1
	s_cselect_b32 s14, -1, 0
	s_cmp_lg_u32 s4, 0
	v_cndmask_b32_e64 v8, 0, 1, s14
	s_cselect_b32 s33, -1, 0
	s_min_u32 s30, s11, 15
	s_cmp_gt_u32 s4, 1
	s_cselect_b32 s11, -1, 0
	s_cmp_gt_i32 s16, 0
	s_cselect_b32 s4, -1, 0
	v_cmpx_gt_i32_e64 s31, v7
	s_cbranch_execnz .LBB2_4
; %bb.1:
	s_or_b32 exec_lo, exec_lo, s34
	s_delay_alu instid0(SALU_CYCLE_1)
	s_mov_b32 s34, exec_lo
	v_cmpx_gt_i32_e64 s31, v7
	s_cbranch_execnz .LBB2_18
.LBB2_2:
	s_or_b32 exec_lo, exec_lo, s34
	s_delay_alu instid0(SALU_CYCLE_1)
	s_mov_b32 s34, exec_lo
	v_cmpx_gt_i32_e64 s31, v7
	s_cbranch_execnz .LBB2_32
.LBB2_3:
	s_or_b32 exec_lo, exec_lo, s34
	s_delay_alu instid0(SALU_CYCLE_1)
	s_mov_b32 s14, exec_lo
	v_cmpx_gt_i32_e64 s31, v7
	s_cbranch_execnz .LBB2_46
	s_branch .LBB2_59
.LBB2_4:
	s_and_not1_b32 vcc_lo, exec_lo, s14
	s_cbranch_vccnz .LBB2_10
; %bb.5:
	v_dual_mov_b32 v2, 0 :: v_dual_mov_b32 v1, 0
	v_mov_b32_e32 v0, 0
	s_and_not1_b32 vcc_lo, exec_lo, s33
	s_mov_b32 s19, 0
	s_cbranch_vccnz .LBB2_11
; %bb.6:
	s_add_i32 s14, s30, 1
	v_dual_mov_b32 v0, 0 :: v_dual_mov_b32 v1, 0
	v_dual_mov_b32 v2, 0 :: v_dual_mov_b32 v3, v7
	s_and_b32 s28, s14, 30
	s_add_u32 s14, s0, 0xffffffec
	s_addc_u32 s15, s1, -1
	s_set_inst_prefetch_distance 0x1
	.p2align	6
.LBB2_7:                                ; =>This Inner Loop Header: Depth=1
	s_clause 0x2
	s_load_b128 s[36:39], s[14:15], 0x18
	s_load_b64 s[44:45], s[14:15], 0x28
	s_load_b128 s[40:43], s[14:15], 0xd8
	s_waitcnt lgkmcnt(0)
	v_mul_hi_u32 v4, s37, v3
	s_delay_alu instid0(VALU_DEP_1) | instskip(NEXT) | instid1(VALU_DEP_1)
	v_add_nc_u32_e32 v4, v3, v4
	v_lshrrev_b32_e32 v4, s38, v4
	s_delay_alu instid0(VALU_DEP_1)
	v_mul_hi_u32 v5, s44, v4
	v_mul_lo_u32 v6, v4, s36
	s_load_b64 s[36:37], s[14:15], 0xe8
	s_add_u32 s14, s14, 24
	s_addc_u32 s15, s15, 0
	s_add_i32 s28, s28, -2
	s_delay_alu instid0(SALU_CYCLE_1) | instskip(NEXT) | instid1(VALU_DEP_2)
	s_cmp_lg_u32 s28, 0
	v_add_nc_u32_e32 v5, v4, v5
	s_delay_alu instid0(VALU_DEP_2) | instskip(NEXT) | instid1(VALU_DEP_2)
	v_sub_nc_u32_e32 v6, v3, v6
	v_lshrrev_b32_e32 v3, s45, v5
	s_delay_alu instid0(VALU_DEP_2) | instskip(NEXT) | instid1(VALU_DEP_2)
	v_mul_lo_u32 v9, v6, s40
	v_mul_lo_u32 v5, v3, s39
	s_delay_alu instid0(VALU_DEP_1) | instskip(SKIP_2) | instid1(VALU_DEP_3)
	v_sub_nc_u32_e32 v4, v4, v5
	v_mul_lo_u32 v5, v6, s41
	v_mul_lo_u32 v6, v6, s42
	;; [unrolled: 1-line block ×3, first 2 shown]
	s_waitcnt lgkmcnt(0)
	v_mul_lo_u32 v11, v4, s36
	v_mul_lo_u32 v4, v4, s37
	s_delay_alu instid0(VALU_DEP_3) | instskip(NEXT) | instid1(VALU_DEP_3)
	v_add3_u32 v2, v9, v2, v10
	v_add3_u32 v1, v5, v1, v11
	s_delay_alu instid0(VALU_DEP_3)
	v_add3_u32 v0, v6, v0, v4
	s_cbranch_scc1 .LBB2_7
; %bb.8:
	s_set_inst_prefetch_distance 0x2
	s_bitcmp1_b32 s30, 0
	s_cselect_b32 s28, -1, 0
	s_delay_alu instid0(SALU_CYCLE_1)
	s_and_b32 vcc_lo, exec_lo, s28
	s_cbranch_vccnz .LBB2_11
; %bb.9:
	s_clause 0x3
	s_load_b64 s[28:29], s[14:15], 0x18
	s_load_b32 s35, s[14:15], 0x20
	s_load_b64 s[36:37], s[14:15], 0xd8
	s_load_b32 s14, s[14:15], 0xe0
	s_waitcnt lgkmcnt(0)
	v_mul_hi_u32 v4, s29, v3
	s_delay_alu instid0(VALU_DEP_1) | instskip(NEXT) | instid1(VALU_DEP_1)
	v_add_nc_u32_e32 v4, v3, v4
	v_lshrrev_b32_e32 v4, s35, v4
	s_delay_alu instid0(VALU_DEP_1) | instskip(NEXT) | instid1(VALU_DEP_1)
	v_mul_lo_u32 v4, v4, s28
	v_sub_nc_u32_e32 v9, v3, v4
	s_delay_alu instid0(VALU_DEP_1) | instskip(SKIP_2) | instid1(VALU_DEP_2)
	v_mad_u64_u32 v[3:4], null, v9, s36, v[2:3]
	v_mad_u64_u32 v[4:5], null, v9, s37, v[1:2]
	v_mad_u64_u32 v[5:6], null, v9, s14, v[0:1]
	v_dual_mov_b32 v2, v3 :: v_dual_mov_b32 v1, v4
	s_delay_alu instid0(VALU_DEP_2)
	v_mov_b32_e32 v0, v5
	s_branch .LBB2_11
.LBB2_10:
                                        ; implicit-def: $vgpr2
                                        ; implicit-def: $vgpr1
                                        ; implicit-def: $vgpr0
.LBB2_11:
	s_and_not1_b32 vcc_lo, exec_lo, s19
	s_cbranch_vccnz .LBB2_14
; %bb.12:
	v_mul_hi_u32 v0, s6, v7
	s_and_not1_b32 vcc_lo, exec_lo, s11
	s_delay_alu instid0(VALU_DEP_1) | instskip(NEXT) | instid1(VALU_DEP_1)
	v_add_nc_u32_e32 v0, v7, v0
	v_lshrrev_b32_e32 v3, s7, v0
	s_delay_alu instid0(VALU_DEP_1) | instskip(NEXT) | instid1(VALU_DEP_1)
	v_mul_lo_u32 v0, v3, s5
	v_sub_nc_u32_e32 v0, v7, v0
	s_delay_alu instid0(VALU_DEP_1)
	v_mul_lo_u32 v2, v0, s24
	v_mul_lo_u32 v1, v0, s25
	;; [unrolled: 1-line block ×3, first 2 shown]
	s_cbranch_vccnz .LBB2_14
; %bb.13:
	v_mul_hi_u32 v4, s9, v3
	s_delay_alu instid0(VALU_DEP_1) | instskip(NEXT) | instid1(VALU_DEP_1)
	v_add_nc_u32_e32 v4, v3, v4
	v_lshrrev_b32_e32 v4, s10, v4
	s_delay_alu instid0(VALU_DEP_1) | instskip(NEXT) | instid1(VALU_DEP_1)
	v_mul_lo_u32 v4, v4, s8
	v_sub_nc_u32_e32 v9, v3, v4
	s_delay_alu instid0(VALU_DEP_1) | instskip(SKIP_2) | instid1(VALU_DEP_2)
	v_mad_u64_u32 v[3:4], null, v9, s27, v[2:3]
	v_mad_u64_u32 v[4:5], null, v9, s12, v[1:2]
	;; [unrolled: 1-line block ×3, first 2 shown]
	v_dual_mov_b32 v2, v3 :: v_dual_mov_b32 v1, v4
	s_delay_alu instid0(VALU_DEP_2)
	v_mov_b32_e32 v0, v5
.LBB2_14:
	s_and_not1_b32 vcc_lo, exec_lo, s4
	s_cbranch_vccnz .LBB2_17
; %bb.15:
	global_load_b32 v6, v2, s[20:21]
	v_add_co_u32 v2, s14, s20, v2
	s_delay_alu instid0(VALU_DEP_1) | instskip(SKIP_1) | instid1(VALU_DEP_1)
	v_add_co_ci_u32_e64 v3, null, s21, 0, s14
	v_add_co_u32 v4, s14, s22, v1
	v_add_co_ci_u32_e64 v5, null, s23, 0, s14
	v_add_co_u32 v0, s14, s2, v0
	s_delay_alu instid0(VALU_DEP_1)
	v_add_co_ci_u32_e64 v1, null, s3, 0, s14
	s_ashr_i32 s19, s18, 31
	s_ashr_i32 s29, s17, 31
	s_mov_b32 s28, s17
	s_lshl_b64 s[14:15], s[18:19], 2
	s_lshl_b64 s[28:29], s[28:29], 2
	s_mov_b32 s19, s16
	.p2align	6
.LBB2_16:                               ; =>This Inner Loop Header: Depth=1
	global_load_b32 v11, v[4:5], off
	global_load_b32 v12, v[0:1], off
	v_add_co_u32 v0, vcc_lo, v0, s14
	v_add_co_ci_u32_e32 v1, vcc_lo, s15, v1, vcc_lo
	v_add_co_u32 v4, vcc_lo, v4, s28
	v_add_co_ci_u32_e32 v5, vcc_lo, s29, v5, vcc_lo
	s_add_i32 s19, s19, -1
	s_delay_alu instid0(SALU_CYCLE_1) | instskip(SKIP_2) | instid1(VALU_DEP_1)
	s_cmp_lg_u32 s19, 0
	s_waitcnt vmcnt(0)
	v_mad_u64_u32 v[9:10], null, v12, v11, v[6:7]
	v_mov_b32_e32 v6, v9
	global_store_b32 v[2:3], v9, off
	s_cbranch_scc1 .LBB2_16
.LBB2_17:
	v_add_nc_u32_e32 v7, 0x100, v7
	s_or_b32 exec_lo, exec_lo, s34
	s_delay_alu instid0(SALU_CYCLE_1) | instskip(NEXT) | instid1(VALU_DEP_1)
	s_mov_b32 s34, exec_lo
	v_cmpx_gt_i32_e64 s31, v7
	s_cbranch_execz .LBB2_2
.LBB2_18:
	v_cmp_ne_u32_e32 vcc_lo, 1, v8
	s_cbranch_vccnz .LBB2_24
; %bb.19:
	v_dual_mov_b32 v2, 0 :: v_dual_mov_b32 v1, 0
	v_mov_b32_e32 v0, 0
	s_and_not1_b32 vcc_lo, exec_lo, s33
	s_mov_b32 s19, 0
	s_cbranch_vccnz .LBB2_25
; %bb.20:
	s_add_i32 s14, s30, 1
	v_dual_mov_b32 v0, 0 :: v_dual_mov_b32 v1, 0
	v_dual_mov_b32 v2, 0 :: v_dual_mov_b32 v3, v7
	s_and_b32 s28, s14, 30
	s_add_u32 s14, s0, 0xffffffec
	s_addc_u32 s15, s1, -1
	s_set_inst_prefetch_distance 0x1
	.p2align	6
.LBB2_21:                               ; =>This Inner Loop Header: Depth=1
	s_clause 0x2
	s_load_b128 s[36:39], s[14:15], 0x18
	s_load_b64 s[44:45], s[14:15], 0x28
	s_load_b128 s[40:43], s[14:15], 0xd8
	s_waitcnt lgkmcnt(0)
	v_mul_hi_u32 v4, s37, v3
	s_delay_alu instid0(VALU_DEP_1) | instskip(NEXT) | instid1(VALU_DEP_1)
	v_add_nc_u32_e32 v4, v3, v4
	v_lshrrev_b32_e32 v4, s38, v4
	s_delay_alu instid0(VALU_DEP_1)
	v_mul_hi_u32 v5, s44, v4
	v_mul_lo_u32 v6, v4, s36
	s_load_b64 s[36:37], s[14:15], 0xe8
	s_add_u32 s14, s14, 24
	s_addc_u32 s15, s15, 0
	s_add_i32 s28, s28, -2
	s_delay_alu instid0(SALU_CYCLE_1) | instskip(NEXT) | instid1(VALU_DEP_2)
	s_cmp_eq_u32 s28, 0
	v_add_nc_u32_e32 v5, v4, v5
	s_delay_alu instid0(VALU_DEP_2) | instskip(NEXT) | instid1(VALU_DEP_2)
	v_sub_nc_u32_e32 v6, v3, v6
	v_lshrrev_b32_e32 v3, s45, v5
	s_delay_alu instid0(VALU_DEP_2) | instskip(NEXT) | instid1(VALU_DEP_2)
	v_mul_lo_u32 v9, v6, s40
	v_mul_lo_u32 v5, v3, s39
	s_delay_alu instid0(VALU_DEP_1) | instskip(SKIP_2) | instid1(VALU_DEP_3)
	v_sub_nc_u32_e32 v4, v4, v5
	v_mul_lo_u32 v5, v6, s41
	v_mul_lo_u32 v6, v6, s42
	;; [unrolled: 1-line block ×3, first 2 shown]
	s_waitcnt lgkmcnt(0)
	v_mul_lo_u32 v11, v4, s36
	v_mul_lo_u32 v4, v4, s37
	s_delay_alu instid0(VALU_DEP_3) | instskip(NEXT) | instid1(VALU_DEP_3)
	v_add3_u32 v2, v9, v2, v10
	v_add3_u32 v1, v5, v1, v11
	s_delay_alu instid0(VALU_DEP_3)
	v_add3_u32 v0, v6, v0, v4
	s_cbranch_scc0 .LBB2_21
; %bb.22:
	s_set_inst_prefetch_distance 0x2
	s_bitcmp1_b32 s30, 0
	s_cselect_b32 s28, -1, 0
	s_delay_alu instid0(SALU_CYCLE_1)
	s_and_b32 vcc_lo, exec_lo, s28
	s_cbranch_vccnz .LBB2_25
; %bb.23:
	s_clause 0x3
	s_load_b64 s[28:29], s[14:15], 0x18
	s_load_b32 s35, s[14:15], 0x20
	s_load_b64 s[36:37], s[14:15], 0xd8
	s_load_b32 s14, s[14:15], 0xe0
	s_waitcnt lgkmcnt(0)
	v_mul_hi_u32 v4, s29, v3
	s_delay_alu instid0(VALU_DEP_1) | instskip(NEXT) | instid1(VALU_DEP_1)
	v_add_nc_u32_e32 v4, v3, v4
	v_lshrrev_b32_e32 v4, s35, v4
	s_delay_alu instid0(VALU_DEP_1) | instskip(NEXT) | instid1(VALU_DEP_1)
	v_mul_lo_u32 v4, v4, s28
	v_sub_nc_u32_e32 v9, v3, v4
	s_delay_alu instid0(VALU_DEP_1) | instskip(SKIP_2) | instid1(VALU_DEP_2)
	v_mad_u64_u32 v[3:4], null, v9, s36, v[2:3]
	v_mad_u64_u32 v[4:5], null, v9, s37, v[1:2]
	;; [unrolled: 1-line block ×3, first 2 shown]
	v_dual_mov_b32 v2, v3 :: v_dual_mov_b32 v1, v4
	s_delay_alu instid0(VALU_DEP_2)
	v_mov_b32_e32 v0, v5
	s_branch .LBB2_25
.LBB2_24:
	s_mov_b32 s19, -1
                                        ; implicit-def: $vgpr2
                                        ; implicit-def: $vgpr1
                                        ; implicit-def: $vgpr0
.LBB2_25:
	s_delay_alu instid0(SALU_CYCLE_1)
	s_and_not1_b32 vcc_lo, exec_lo, s19
	s_cbranch_vccnz .LBB2_28
; %bb.26:
	v_mul_hi_u32 v0, s6, v7
	s_and_not1_b32 vcc_lo, exec_lo, s11
	s_delay_alu instid0(VALU_DEP_1) | instskip(NEXT) | instid1(VALU_DEP_1)
	v_add_nc_u32_e32 v0, v7, v0
	v_lshrrev_b32_e32 v3, s7, v0
	s_delay_alu instid0(VALU_DEP_1) | instskip(NEXT) | instid1(VALU_DEP_1)
	v_mul_lo_u32 v0, v3, s5
	v_sub_nc_u32_e32 v0, v7, v0
	s_delay_alu instid0(VALU_DEP_1)
	v_mul_lo_u32 v2, v0, s24
	v_mul_lo_u32 v1, v0, s25
	;; [unrolled: 1-line block ×3, first 2 shown]
	s_cbranch_vccnz .LBB2_28
; %bb.27:
	v_mul_hi_u32 v4, s9, v3
	s_delay_alu instid0(VALU_DEP_1) | instskip(NEXT) | instid1(VALU_DEP_1)
	v_add_nc_u32_e32 v4, v3, v4
	v_lshrrev_b32_e32 v4, s10, v4
	s_delay_alu instid0(VALU_DEP_1) | instskip(NEXT) | instid1(VALU_DEP_1)
	v_mul_lo_u32 v4, v4, s8
	v_sub_nc_u32_e32 v9, v3, v4
	s_delay_alu instid0(VALU_DEP_1) | instskip(SKIP_2) | instid1(VALU_DEP_2)
	v_mad_u64_u32 v[3:4], null, v9, s27, v[2:3]
	v_mad_u64_u32 v[4:5], null, v9, s12, v[1:2]
	;; [unrolled: 1-line block ×3, first 2 shown]
	v_dual_mov_b32 v2, v3 :: v_dual_mov_b32 v1, v4
	s_delay_alu instid0(VALU_DEP_2)
	v_mov_b32_e32 v0, v5
.LBB2_28:
	s_and_not1_b32 vcc_lo, exec_lo, s4
	s_cbranch_vccnz .LBB2_31
; %bb.29:
	global_load_b32 v6, v2, s[20:21]
	v_add_co_u32 v2, s14, s20, v2
	s_delay_alu instid0(VALU_DEP_1) | instskip(SKIP_1) | instid1(VALU_DEP_1)
	v_add_co_ci_u32_e64 v3, null, s21, 0, s14
	v_add_co_u32 v4, s14, s22, v1
	v_add_co_ci_u32_e64 v5, null, s23, 0, s14
	v_add_co_u32 v0, s14, s2, v0
	s_delay_alu instid0(VALU_DEP_1)
	v_add_co_ci_u32_e64 v1, null, s3, 0, s14
	s_ashr_i32 s19, s18, 31
	s_ashr_i32 s29, s17, 31
	s_mov_b32 s28, s17
	s_lshl_b64 s[14:15], s[18:19], 2
	s_lshl_b64 s[28:29], s[28:29], 2
	s_mov_b32 s19, s16
	.p2align	6
.LBB2_30:                               ; =>This Inner Loop Header: Depth=1
	global_load_b32 v11, v[4:5], off
	global_load_b32 v12, v[0:1], off
	v_add_co_u32 v0, vcc_lo, v0, s14
	v_add_co_ci_u32_e32 v1, vcc_lo, s15, v1, vcc_lo
	v_add_co_u32 v4, vcc_lo, v4, s28
	v_add_co_ci_u32_e32 v5, vcc_lo, s29, v5, vcc_lo
	s_add_i32 s19, s19, -1
	s_delay_alu instid0(SALU_CYCLE_1) | instskip(SKIP_2) | instid1(VALU_DEP_1)
	s_cmp_lg_u32 s19, 0
	s_waitcnt vmcnt(0)
	v_mad_u64_u32 v[9:10], null, v12, v11, v[6:7]
	v_mov_b32_e32 v6, v9
	global_store_b32 v[2:3], v9, off
	s_cbranch_scc1 .LBB2_30
.LBB2_31:
	v_add_nc_u32_e32 v7, 0x100, v7
	s_or_b32 exec_lo, exec_lo, s34
	s_delay_alu instid0(SALU_CYCLE_1) | instskip(NEXT) | instid1(VALU_DEP_1)
	s_mov_b32 s34, exec_lo
	v_cmpx_gt_i32_e64 s31, v7
	s_cbranch_execz .LBB2_3
.LBB2_32:
	v_cmp_ne_u32_e32 vcc_lo, 1, v8
	s_cbranch_vccnz .LBB2_38
; %bb.33:
	v_dual_mov_b32 v2, 0 :: v_dual_mov_b32 v1, 0
	v_mov_b32_e32 v0, 0
	s_and_not1_b32 vcc_lo, exec_lo, s33
	s_mov_b32 s19, 0
	s_cbranch_vccnz .LBB2_39
; %bb.34:
	s_add_i32 s14, s30, 1
	v_dual_mov_b32 v0, 0 :: v_dual_mov_b32 v1, 0
	v_dual_mov_b32 v2, 0 :: v_dual_mov_b32 v3, v7
	s_and_b32 s28, s14, 30
	s_add_u32 s14, s0, 0xffffffec
	s_addc_u32 s15, s1, -1
	s_set_inst_prefetch_distance 0x1
	.p2align	6
.LBB2_35:                               ; =>This Inner Loop Header: Depth=1
	s_clause 0x2
	s_load_b128 s[36:39], s[14:15], 0x18
	s_load_b64 s[44:45], s[14:15], 0x28
	s_load_b128 s[40:43], s[14:15], 0xd8
	s_waitcnt lgkmcnt(0)
	v_mul_hi_u32 v4, s37, v3
	s_delay_alu instid0(VALU_DEP_1) | instskip(NEXT) | instid1(VALU_DEP_1)
	v_add_nc_u32_e32 v4, v3, v4
	v_lshrrev_b32_e32 v4, s38, v4
	s_delay_alu instid0(VALU_DEP_1)
	v_mul_hi_u32 v5, s44, v4
	v_mul_lo_u32 v6, v4, s36
	s_load_b64 s[36:37], s[14:15], 0xe8
	s_add_u32 s14, s14, 24
	s_addc_u32 s15, s15, 0
	s_add_i32 s28, s28, -2
	s_delay_alu instid0(SALU_CYCLE_1) | instskip(NEXT) | instid1(VALU_DEP_2)
	s_cmp_eq_u32 s28, 0
	v_add_nc_u32_e32 v5, v4, v5
	s_delay_alu instid0(VALU_DEP_2) | instskip(NEXT) | instid1(VALU_DEP_2)
	v_sub_nc_u32_e32 v6, v3, v6
	v_lshrrev_b32_e32 v3, s45, v5
	s_delay_alu instid0(VALU_DEP_2) | instskip(NEXT) | instid1(VALU_DEP_2)
	v_mul_lo_u32 v9, v6, s40
	v_mul_lo_u32 v5, v3, s39
	s_delay_alu instid0(VALU_DEP_1) | instskip(SKIP_2) | instid1(VALU_DEP_3)
	v_sub_nc_u32_e32 v4, v4, v5
	v_mul_lo_u32 v5, v6, s41
	v_mul_lo_u32 v6, v6, s42
	;; [unrolled: 1-line block ×3, first 2 shown]
	s_waitcnt lgkmcnt(0)
	v_mul_lo_u32 v11, v4, s36
	v_mul_lo_u32 v4, v4, s37
	s_delay_alu instid0(VALU_DEP_3) | instskip(NEXT) | instid1(VALU_DEP_3)
	v_add3_u32 v2, v9, v2, v10
	v_add3_u32 v1, v5, v1, v11
	s_delay_alu instid0(VALU_DEP_3)
	v_add3_u32 v0, v6, v0, v4
	s_cbranch_scc0 .LBB2_35
; %bb.36:
	s_set_inst_prefetch_distance 0x2
	s_bitcmp1_b32 s30, 0
	s_cselect_b32 s28, -1, 0
	s_delay_alu instid0(SALU_CYCLE_1)
	s_and_b32 vcc_lo, exec_lo, s28
	s_cbranch_vccnz .LBB2_39
; %bb.37:
	s_clause 0x3
	s_load_b64 s[28:29], s[14:15], 0x18
	s_load_b32 s35, s[14:15], 0x20
	s_load_b64 s[36:37], s[14:15], 0xd8
	s_load_b32 s14, s[14:15], 0xe0
	s_waitcnt lgkmcnt(0)
	v_mul_hi_u32 v4, s29, v3
	s_delay_alu instid0(VALU_DEP_1) | instskip(NEXT) | instid1(VALU_DEP_1)
	v_add_nc_u32_e32 v4, v3, v4
	v_lshrrev_b32_e32 v4, s35, v4
	s_delay_alu instid0(VALU_DEP_1) | instskip(NEXT) | instid1(VALU_DEP_1)
	v_mul_lo_u32 v4, v4, s28
	v_sub_nc_u32_e32 v9, v3, v4
	s_delay_alu instid0(VALU_DEP_1) | instskip(SKIP_2) | instid1(VALU_DEP_2)
	v_mad_u64_u32 v[3:4], null, v9, s36, v[2:3]
	v_mad_u64_u32 v[4:5], null, v9, s37, v[1:2]
	v_mad_u64_u32 v[5:6], null, v9, s14, v[0:1]
	v_dual_mov_b32 v2, v3 :: v_dual_mov_b32 v1, v4
	s_delay_alu instid0(VALU_DEP_2)
	v_mov_b32_e32 v0, v5
	s_branch .LBB2_39
.LBB2_38:
	s_mov_b32 s19, -1
                                        ; implicit-def: $vgpr2
                                        ; implicit-def: $vgpr1
                                        ; implicit-def: $vgpr0
.LBB2_39:
	s_delay_alu instid0(SALU_CYCLE_1)
	s_and_not1_b32 vcc_lo, exec_lo, s19
	s_cbranch_vccnz .LBB2_42
; %bb.40:
	v_mul_hi_u32 v0, s6, v7
	s_and_not1_b32 vcc_lo, exec_lo, s11
	s_delay_alu instid0(VALU_DEP_1) | instskip(NEXT) | instid1(VALU_DEP_1)
	v_add_nc_u32_e32 v0, v7, v0
	v_lshrrev_b32_e32 v3, s7, v0
	s_delay_alu instid0(VALU_DEP_1) | instskip(NEXT) | instid1(VALU_DEP_1)
	v_mul_lo_u32 v0, v3, s5
	v_sub_nc_u32_e32 v0, v7, v0
	s_delay_alu instid0(VALU_DEP_1)
	v_mul_lo_u32 v2, v0, s24
	v_mul_lo_u32 v1, v0, s25
	;; [unrolled: 1-line block ×3, first 2 shown]
	s_cbranch_vccnz .LBB2_42
; %bb.41:
	v_mul_hi_u32 v4, s9, v3
	s_delay_alu instid0(VALU_DEP_1) | instskip(NEXT) | instid1(VALU_DEP_1)
	v_add_nc_u32_e32 v4, v3, v4
	v_lshrrev_b32_e32 v4, s10, v4
	s_delay_alu instid0(VALU_DEP_1) | instskip(NEXT) | instid1(VALU_DEP_1)
	v_mul_lo_u32 v4, v4, s8
	v_sub_nc_u32_e32 v9, v3, v4
	s_delay_alu instid0(VALU_DEP_1) | instskip(SKIP_2) | instid1(VALU_DEP_2)
	v_mad_u64_u32 v[3:4], null, v9, s27, v[2:3]
	v_mad_u64_u32 v[4:5], null, v9, s12, v[1:2]
	;; [unrolled: 1-line block ×3, first 2 shown]
	v_dual_mov_b32 v2, v3 :: v_dual_mov_b32 v1, v4
	s_delay_alu instid0(VALU_DEP_2)
	v_mov_b32_e32 v0, v5
.LBB2_42:
	s_and_not1_b32 vcc_lo, exec_lo, s4
	s_cbranch_vccnz .LBB2_45
; %bb.43:
	global_load_b32 v6, v2, s[20:21]
	v_add_co_u32 v2, s14, s20, v2
	s_delay_alu instid0(VALU_DEP_1) | instskip(SKIP_1) | instid1(VALU_DEP_1)
	v_add_co_ci_u32_e64 v3, null, s21, 0, s14
	v_add_co_u32 v4, s14, s22, v1
	v_add_co_ci_u32_e64 v5, null, s23, 0, s14
	v_add_co_u32 v0, s14, s2, v0
	s_delay_alu instid0(VALU_DEP_1)
	v_add_co_ci_u32_e64 v1, null, s3, 0, s14
	s_ashr_i32 s19, s18, 31
	s_ashr_i32 s29, s17, 31
	s_mov_b32 s28, s17
	s_lshl_b64 s[14:15], s[18:19], 2
	s_lshl_b64 s[28:29], s[28:29], 2
	s_mov_b32 s19, s16
	.p2align	6
.LBB2_44:                               ; =>This Inner Loop Header: Depth=1
	global_load_b32 v11, v[4:5], off
	global_load_b32 v12, v[0:1], off
	v_add_co_u32 v0, vcc_lo, v0, s14
	v_add_co_ci_u32_e32 v1, vcc_lo, s15, v1, vcc_lo
	v_add_co_u32 v4, vcc_lo, v4, s28
	v_add_co_ci_u32_e32 v5, vcc_lo, s29, v5, vcc_lo
	s_add_i32 s19, s19, -1
	s_delay_alu instid0(SALU_CYCLE_1) | instskip(SKIP_2) | instid1(VALU_DEP_1)
	s_cmp_lg_u32 s19, 0
	s_waitcnt vmcnt(0)
	v_mad_u64_u32 v[9:10], null, v12, v11, v[6:7]
	v_mov_b32_e32 v6, v9
	global_store_b32 v[2:3], v9, off
	s_cbranch_scc1 .LBB2_44
.LBB2_45:
	v_add_nc_u32_e32 v7, 0x100, v7
	s_or_b32 exec_lo, exec_lo, s34
	s_delay_alu instid0(SALU_CYCLE_1) | instskip(NEXT) | instid1(VALU_DEP_1)
	s_mov_b32 s14, exec_lo
	v_cmpx_gt_i32_e64 s31, v7
	s_cbranch_execz .LBB2_59
.LBB2_46:
	v_cmp_ne_u32_e32 vcc_lo, 1, v8
	s_cbranch_vccnz .LBB2_52
; %bb.47:
	v_dual_mov_b32 v2, 0 :: v_dual_mov_b32 v1, 0
	v_mov_b32_e32 v0, 0
	s_and_not1_b32 vcc_lo, exec_lo, s33
	s_mov_b32 s14, 0
	s_cbranch_vccnz .LBB2_53
; %bb.48:
	s_add_i32 s15, s30, 1
	v_dual_mov_b32 v0, 0 :: v_dual_mov_b32 v1, 0
	v_dual_mov_b32 v2, 0 :: v_dual_mov_b32 v3, v7
	s_and_b32 s15, s15, 30
	s_add_u32 s0, s0, 0xffffffec
	s_addc_u32 s1, s1, -1
	s_set_inst_prefetch_distance 0x1
	.p2align	6
.LBB2_49:                               ; =>This Inner Loop Header: Depth=1
	s_clause 0x3
	s_load_b128 s[36:39], s[0:1], 0x18
	s_load_b64 s[28:29], s[0:1], 0x28
	s_load_b128 s[40:43], s[0:1], 0xd8
	s_load_b64 s[34:35], s[0:1], 0xe8
	s_add_u32 s0, s0, 24
	s_addc_u32 s1, s1, 0
	s_add_i32 s15, s15, -2
	s_delay_alu instid0(SALU_CYCLE_1) | instskip(SKIP_2) | instid1(VALU_DEP_1)
	s_cmp_eq_u32 s15, 0
	s_waitcnt lgkmcnt(0)
	v_mul_hi_u32 v4, s37, v3
	v_add_nc_u32_e32 v4, v3, v4
	s_delay_alu instid0(VALU_DEP_1) | instskip(NEXT) | instid1(VALU_DEP_1)
	v_lshrrev_b32_e32 v4, s38, v4
	v_mul_hi_u32 v5, s28, v4
	v_mul_lo_u32 v6, v4, s36
	s_delay_alu instid0(VALU_DEP_2) | instskip(NEXT) | instid1(VALU_DEP_2)
	v_add_nc_u32_e32 v5, v4, v5
	v_sub_nc_u32_e32 v6, v3, v6
	s_delay_alu instid0(VALU_DEP_2) | instskip(NEXT) | instid1(VALU_DEP_2)
	v_lshrrev_b32_e32 v3, s29, v5
	v_mul_lo_u32 v8, v6, s40
	s_delay_alu instid0(VALU_DEP_2) | instskip(NEXT) | instid1(VALU_DEP_1)
	v_mul_lo_u32 v5, v3, s39
	v_sub_nc_u32_e32 v4, v4, v5
	v_mul_lo_u32 v5, v6, s41
	v_mul_lo_u32 v6, v6, s42
	s_delay_alu instid0(VALU_DEP_3) | instskip(SKIP_2) | instid1(VALU_DEP_3)
	v_mul_lo_u32 v9, v4, s43
	v_mul_lo_u32 v10, v4, s34
	;; [unrolled: 1-line block ×3, first 2 shown]
	v_add3_u32 v2, v8, v2, v9
	s_delay_alu instid0(VALU_DEP_3) | instskip(NEXT) | instid1(VALU_DEP_3)
	v_add3_u32 v1, v5, v1, v10
	v_add3_u32 v0, v6, v0, v4
	s_cbranch_scc0 .LBB2_49
; %bb.50:
	s_set_inst_prefetch_distance 0x2
	s_bitcmp1_b32 s30, 0
	s_cselect_b32 s15, -1, 0
	s_delay_alu instid0(SALU_CYCLE_1)
	s_and_b32 vcc_lo, exec_lo, s15
	s_cbranch_vccnz .LBB2_53
; %bb.51:
	s_clause 0x3
	s_load_b64 s[28:29], s[0:1], 0x18
	s_load_b32 s15, s[0:1], 0x20
	s_load_b64 s[30:31], s[0:1], 0xd8
	s_load_b32 s0, s[0:1], 0xe0
	s_waitcnt lgkmcnt(0)
	v_mul_hi_u32 v4, s29, v3
	s_delay_alu instid0(VALU_DEP_1) | instskip(NEXT) | instid1(VALU_DEP_1)
	v_add_nc_u32_e32 v4, v3, v4
	v_lshrrev_b32_e32 v4, s15, v4
	s_delay_alu instid0(VALU_DEP_1) | instskip(NEXT) | instid1(VALU_DEP_1)
	v_mul_lo_u32 v4, v4, s28
	v_sub_nc_u32_e32 v8, v3, v4
	s_delay_alu instid0(VALU_DEP_1) | instskip(SKIP_2) | instid1(VALU_DEP_2)
	v_mad_u64_u32 v[3:4], null, v8, s30, v[2:3]
	v_mad_u64_u32 v[4:5], null, v8, s31, v[1:2]
	;; [unrolled: 1-line block ×3, first 2 shown]
	v_dual_mov_b32 v2, v3 :: v_dual_mov_b32 v1, v4
	s_delay_alu instid0(VALU_DEP_2)
	v_mov_b32_e32 v0, v5
	s_branch .LBB2_53
.LBB2_52:
	s_mov_b32 s14, -1
                                        ; implicit-def: $vgpr2
                                        ; implicit-def: $vgpr1
                                        ; implicit-def: $vgpr0
.LBB2_53:
	s_delay_alu instid0(SALU_CYCLE_1)
	s_and_not1_b32 vcc_lo, exec_lo, s14
	s_cbranch_vccnz .LBB2_56
; %bb.54:
	v_mul_hi_u32 v0, s6, v7
	s_and_not1_b32 vcc_lo, exec_lo, s11
	s_delay_alu instid0(VALU_DEP_1) | instskip(NEXT) | instid1(VALU_DEP_1)
	v_add_nc_u32_e32 v0, v7, v0
	v_lshrrev_b32_e32 v3, s7, v0
	s_delay_alu instid0(VALU_DEP_1) | instskip(NEXT) | instid1(VALU_DEP_1)
	v_mul_lo_u32 v0, v3, s5
	v_sub_nc_u32_e32 v0, v7, v0
	s_delay_alu instid0(VALU_DEP_1)
	v_mul_lo_u32 v2, v0, s24
	v_mul_lo_u32 v1, v0, s25
	;; [unrolled: 1-line block ×3, first 2 shown]
	s_cbranch_vccnz .LBB2_56
; %bb.55:
	v_mul_hi_u32 v4, s9, v3
	s_delay_alu instid0(VALU_DEP_1) | instskip(NEXT) | instid1(VALU_DEP_1)
	v_add_nc_u32_e32 v4, v3, v4
	v_lshrrev_b32_e32 v4, s10, v4
	s_delay_alu instid0(VALU_DEP_1) | instskip(NEXT) | instid1(VALU_DEP_1)
	v_mul_lo_u32 v4, v4, s8
	v_sub_nc_u32_e32 v7, v3, v4
	s_delay_alu instid0(VALU_DEP_1) | instskip(SKIP_2) | instid1(VALU_DEP_2)
	v_mad_u64_u32 v[3:4], null, v7, s27, v[2:3]
	v_mad_u64_u32 v[4:5], null, v7, s12, v[1:2]
	;; [unrolled: 1-line block ×3, first 2 shown]
	v_dual_mov_b32 v2, v3 :: v_dual_mov_b32 v1, v4
	s_delay_alu instid0(VALU_DEP_2)
	v_mov_b32_e32 v0, v5
.LBB2_56:
	s_and_not1_b32 vcc_lo, exec_lo, s4
	s_cbranch_vccnz .LBB2_59
; %bb.57:
	global_load_b32 v6, v2, s[20:21]
	v_add_co_u32 v2, s0, s20, v2
	s_delay_alu instid0(VALU_DEP_1) | instskip(SKIP_1) | instid1(VALU_DEP_1)
	v_add_co_ci_u32_e64 v3, null, s21, 0, s0
	v_add_co_u32 v4, s0, s22, v1
	v_add_co_ci_u32_e64 v5, null, s23, 0, s0
	v_add_co_u32 v0, s0, s2, v0
	s_delay_alu instid0(VALU_DEP_1)
	v_add_co_ci_u32_e64 v1, null, s3, 0, s0
	s_ashr_i32 s19, s18, 31
	s_ashr_i32 s3, s17, 31
	s_mov_b32 s2, s17
	s_lshl_b64 s[0:1], s[18:19], 2
	s_lshl_b64 s[2:3], s[2:3], 2
	.p2align	6
.LBB2_58:                               ; =>This Inner Loop Header: Depth=1
	global_load_b32 v9, v[4:5], off
	global_load_b32 v10, v[0:1], off
	v_add_co_u32 v0, vcc_lo, v0, s0
	v_add_co_ci_u32_e32 v1, vcc_lo, s1, v1, vcc_lo
	v_add_co_u32 v4, vcc_lo, v4, s2
	v_add_co_ci_u32_e32 v5, vcc_lo, s3, v5, vcc_lo
	s_add_i32 s16, s16, -1
	s_delay_alu instid0(SALU_CYCLE_1) | instskip(SKIP_2) | instid1(VALU_DEP_1)
	s_cmp_lg_u32 s16, 0
	s_waitcnt vmcnt(0)
	v_mad_u64_u32 v[7:8], null, v10, v9, v[6:7]
	v_mov_b32_e32 v6, v7
	global_store_b32 v[2:3], v7, off
	s_cbranch_scc1 .LBB2_58
.LBB2_59:
	s_nop 0
	s_sendmsg sendmsg(MSG_DEALLOC_VGPRS)
	s_endpgm
	.section	.rodata,"a",@progbits
	.p2align	6, 0x0
	.amdhsa_kernel _ZN2at6native12_GLOBAL__N_116_elemwise_kernelILi256ELi4EZNS1_43_compute_linear_combination_internal_kernelIiEEvRNS_14TensorIteratorEiiiEUliE_EEviT1_
		.amdhsa_group_segment_fixed_size 0
		.amdhsa_private_segment_fixed_size 0
		.amdhsa_kernarg_size 440
		.amdhsa_user_sgpr_count 15
		.amdhsa_user_sgpr_dispatch_ptr 0
		.amdhsa_user_sgpr_queue_ptr 0
		.amdhsa_user_sgpr_kernarg_segment_ptr 1
		.amdhsa_user_sgpr_dispatch_id 0
		.amdhsa_user_sgpr_private_segment_size 0
		.amdhsa_wavefront_size32 1
		.amdhsa_uses_dynamic_stack 0
		.amdhsa_enable_private_segment 0
		.amdhsa_system_sgpr_workgroup_id_x 1
		.amdhsa_system_sgpr_workgroup_id_y 0
		.amdhsa_system_sgpr_workgroup_id_z 0
		.amdhsa_system_sgpr_workgroup_info 0
		.amdhsa_system_vgpr_workitem_id 0
		.amdhsa_next_free_vgpr 13
		.amdhsa_next_free_sgpr 46
		.amdhsa_reserve_vcc 1
		.amdhsa_float_round_mode_32 0
		.amdhsa_float_round_mode_16_64 0
		.amdhsa_float_denorm_mode_32 3
		.amdhsa_float_denorm_mode_16_64 3
		.amdhsa_dx10_clamp 1
		.amdhsa_ieee_mode 1
		.amdhsa_fp16_overflow 0
		.amdhsa_workgroup_processor_mode 1
		.amdhsa_memory_ordered 1
		.amdhsa_forward_progress 0
		.amdhsa_shared_vgpr_count 0
		.amdhsa_exception_fp_ieee_invalid_op 0
		.amdhsa_exception_fp_denorm_src 0
		.amdhsa_exception_fp_ieee_div_zero 0
		.amdhsa_exception_fp_ieee_overflow 0
		.amdhsa_exception_fp_ieee_underflow 0
		.amdhsa_exception_fp_ieee_inexact 0
		.amdhsa_exception_int_div_zero 0
	.end_amdhsa_kernel
	.section	.text._ZN2at6native12_GLOBAL__N_116_elemwise_kernelILi256ELi4EZNS1_43_compute_linear_combination_internal_kernelIiEEvRNS_14TensorIteratorEiiiEUliE_EEviT1_,"axG",@progbits,_ZN2at6native12_GLOBAL__N_116_elemwise_kernelILi256ELi4EZNS1_43_compute_linear_combination_internal_kernelIiEEvRNS_14TensorIteratorEiiiEUliE_EEviT1_,comdat
.Lfunc_end2:
	.size	_ZN2at6native12_GLOBAL__N_116_elemwise_kernelILi256ELi4EZNS1_43_compute_linear_combination_internal_kernelIiEEvRNS_14TensorIteratorEiiiEUliE_EEviT1_, .Lfunc_end2-_ZN2at6native12_GLOBAL__N_116_elemwise_kernelILi256ELi4EZNS1_43_compute_linear_combination_internal_kernelIiEEvRNS_14TensorIteratorEiiiEUliE_EEviT1_
                                        ; -- End function
	.section	.AMDGPU.csdata,"",@progbits
; Kernel info:
; codeLenInByte = 3464
; NumSgprs: 48
; NumVgprs: 13
; ScratchSize: 0
; MemoryBound: 0
; FloatMode: 240
; IeeeMode: 1
; LDSByteSize: 0 bytes/workgroup (compile time only)
; SGPRBlocks: 5
; VGPRBlocks: 1
; NumSGPRsForWavesPerEU: 48
; NumVGPRsForWavesPerEU: 13
; Occupancy: 16
; WaveLimiterHint : 1
; COMPUTE_PGM_RSRC2:SCRATCH_EN: 0
; COMPUTE_PGM_RSRC2:USER_SGPR: 15
; COMPUTE_PGM_RSRC2:TRAP_HANDLER: 0
; COMPUTE_PGM_RSRC2:TGID_X_EN: 1
; COMPUTE_PGM_RSRC2:TGID_Y_EN: 0
; COMPUTE_PGM_RSRC2:TGID_Z_EN: 0
; COMPUTE_PGM_RSRC2:TIDIG_COMP_CNT: 0
	.section	.text._ZN2at6native12_GLOBAL__N_116_elemwise_kernelILi256ELi4EZNS1_43_compute_linear_combination_internal_kernelIlEEvRNS_14TensorIteratorEiiiEUliE_EEviT1_,"axG",@progbits,_ZN2at6native12_GLOBAL__N_116_elemwise_kernelILi256ELi4EZNS1_43_compute_linear_combination_internal_kernelIlEEvRNS_14TensorIteratorEiiiEUliE_EEviT1_,comdat
	.globl	_ZN2at6native12_GLOBAL__N_116_elemwise_kernelILi256ELi4EZNS1_43_compute_linear_combination_internal_kernelIlEEvRNS_14TensorIteratorEiiiEUliE_EEviT1_ ; -- Begin function _ZN2at6native12_GLOBAL__N_116_elemwise_kernelILi256ELi4EZNS1_43_compute_linear_combination_internal_kernelIlEEvRNS_14TensorIteratorEiiiEUliE_EEviT1_
	.p2align	8
	.type	_ZN2at6native12_GLOBAL__N_116_elemwise_kernelILi256ELi4EZNS1_43_compute_linear_combination_internal_kernelIlEEvRNS_14TensorIteratorEiiiEUliE_EEviT1_,@function
_ZN2at6native12_GLOBAL__N_116_elemwise_kernelILi256ELi4EZNS1_43_compute_linear_combination_internal_kernelIlEEvRNS_14TensorIteratorEiiiEUliE_EEviT1_: ; @_ZN2at6native12_GLOBAL__N_116_elemwise_kernelILi256ELi4EZNS1_43_compute_linear_combination_internal_kernelIlEEvRNS_14TensorIteratorEiiiEUliE_EEviT1_
; %bb.0:
	s_clause 0x6
	s_load_b256 s[4:11], s[0:1], 0x8
	s_load_b32 s31, s[0:1], 0x0
	s_load_b128 s[16:19], s[0:1], 0x1a8
	s_load_b128 s[24:27], s[0:1], 0xcc
	s_load_b64 s[12:13], s[0:1], 0xdc
	s_load_b64 s[2:3], s[0:1], 0x1a0
	s_load_b128 s[20:23], s[0:1], 0x190
	s_or_b32 s0, s0, 8
	v_lshl_or_b32 v8, s15, 10, v0
	s_waitcnt lgkmcnt(0)
	s_mov_b32 s19, -1
	s_mov_b32 s34, exec_lo
	s_add_i32 s11, s4, -1
	s_delay_alu instid0(SALU_CYCLE_1)
	s_cmp_gt_u32 s11, 1
	s_cselect_b32 s14, -1, 0
	s_cmp_lg_u32 s4, 0
	v_cndmask_b32_e64 v9, 0, 1, s14
	s_cselect_b32 s33, -1, 0
	s_min_u32 s30, s11, 15
	s_cmp_gt_u32 s4, 1
	s_cselect_b32 s11, -1, 0
	s_cmp_gt_i32 s16, 0
	s_cselect_b32 s4, -1, 0
	v_cmpx_gt_i32_e64 s31, v8
	s_cbranch_execnz .LBB3_4
; %bb.1:
	s_or_b32 exec_lo, exec_lo, s34
	s_delay_alu instid0(SALU_CYCLE_1)
	s_mov_b32 s34, exec_lo
	v_cmpx_gt_i32_e64 s31, v8
	s_cbranch_execnz .LBB3_18
.LBB3_2:
	s_or_b32 exec_lo, exec_lo, s34
	s_delay_alu instid0(SALU_CYCLE_1)
	s_mov_b32 s34, exec_lo
	v_cmpx_gt_i32_e64 s31, v8
	s_cbranch_execnz .LBB3_32
.LBB3_3:
	s_or_b32 exec_lo, exec_lo, s34
	s_delay_alu instid0(SALU_CYCLE_1)
	s_mov_b32 s14, exec_lo
	v_cmpx_gt_i32_e64 s31, v8
	s_cbranch_execnz .LBB3_46
	s_branch .LBB3_59
.LBB3_4:
	s_and_not1_b32 vcc_lo, exec_lo, s14
	s_cbranch_vccnz .LBB3_10
; %bb.5:
	v_dual_mov_b32 v2, 0 :: v_dual_mov_b32 v1, 0
	v_mov_b32_e32 v0, 0
	s_and_not1_b32 vcc_lo, exec_lo, s33
	s_mov_b32 s19, 0
	s_cbranch_vccnz .LBB3_11
; %bb.6:
	s_add_i32 s14, s30, 1
	v_dual_mov_b32 v0, 0 :: v_dual_mov_b32 v1, 0
	v_dual_mov_b32 v2, 0 :: v_dual_mov_b32 v3, v8
	s_and_b32 s28, s14, 30
	s_add_u32 s14, s0, 0xffffffec
	s_addc_u32 s15, s1, -1
	s_set_inst_prefetch_distance 0x1
	.p2align	6
.LBB3_7:                                ; =>This Inner Loop Header: Depth=1
	s_clause 0x2
	s_load_b128 s[36:39], s[14:15], 0x18
	s_load_b64 s[44:45], s[14:15], 0x28
	s_load_b128 s[40:43], s[14:15], 0xd8
	s_waitcnt lgkmcnt(0)
	v_mul_hi_u32 v4, s37, v3
	s_delay_alu instid0(VALU_DEP_1) | instskip(NEXT) | instid1(VALU_DEP_1)
	v_add_nc_u32_e32 v4, v3, v4
	v_lshrrev_b32_e32 v4, s38, v4
	s_delay_alu instid0(VALU_DEP_1)
	v_mul_hi_u32 v5, s44, v4
	v_mul_lo_u32 v6, v4, s36
	s_load_b64 s[36:37], s[14:15], 0xe8
	s_add_u32 s14, s14, 24
	s_addc_u32 s15, s15, 0
	s_add_i32 s28, s28, -2
	s_delay_alu instid0(SALU_CYCLE_1) | instskip(NEXT) | instid1(VALU_DEP_2)
	s_cmp_lg_u32 s28, 0
	v_add_nc_u32_e32 v5, v4, v5
	s_delay_alu instid0(VALU_DEP_2) | instskip(NEXT) | instid1(VALU_DEP_2)
	v_sub_nc_u32_e32 v6, v3, v6
	v_lshrrev_b32_e32 v3, s45, v5
	s_delay_alu instid0(VALU_DEP_2) | instskip(NEXT) | instid1(VALU_DEP_2)
	v_mul_lo_u32 v7, v6, s40
	v_mul_lo_u32 v5, v3, s39
	s_delay_alu instid0(VALU_DEP_1) | instskip(SKIP_2) | instid1(VALU_DEP_3)
	v_sub_nc_u32_e32 v4, v4, v5
	v_mul_lo_u32 v5, v6, s41
	v_mul_lo_u32 v6, v6, s42
	;; [unrolled: 1-line block ×3, first 2 shown]
	s_waitcnt lgkmcnt(0)
	v_mul_lo_u32 v11, v4, s36
	v_mul_lo_u32 v4, v4, s37
	s_delay_alu instid0(VALU_DEP_3) | instskip(NEXT) | instid1(VALU_DEP_3)
	v_add3_u32 v2, v7, v2, v10
	v_add3_u32 v1, v5, v1, v11
	s_delay_alu instid0(VALU_DEP_3)
	v_add3_u32 v0, v6, v0, v4
	s_cbranch_scc1 .LBB3_7
; %bb.8:
	s_set_inst_prefetch_distance 0x2
	s_bitcmp1_b32 s30, 0
	s_cselect_b32 s28, -1, 0
	s_delay_alu instid0(SALU_CYCLE_1)
	s_and_b32 vcc_lo, exec_lo, s28
	s_cbranch_vccnz .LBB3_11
; %bb.9:
	s_clause 0x3
	s_load_b64 s[28:29], s[14:15], 0x18
	s_load_b32 s35, s[14:15], 0x20
	s_load_b64 s[36:37], s[14:15], 0xd8
	s_load_b32 s14, s[14:15], 0xe0
	s_waitcnt lgkmcnt(0)
	v_mul_hi_u32 v4, s29, v3
	s_delay_alu instid0(VALU_DEP_1) | instskip(NEXT) | instid1(VALU_DEP_1)
	v_add_nc_u32_e32 v4, v3, v4
	v_lshrrev_b32_e32 v4, s35, v4
	s_delay_alu instid0(VALU_DEP_1) | instskip(NEXT) | instid1(VALU_DEP_1)
	v_mul_lo_u32 v4, v4, s28
	v_sub_nc_u32_e32 v7, v3, v4
	s_delay_alu instid0(VALU_DEP_1) | instskip(SKIP_2) | instid1(VALU_DEP_2)
	v_mad_u64_u32 v[3:4], null, v7, s36, v[2:3]
	v_mad_u64_u32 v[4:5], null, v7, s37, v[1:2]
	;; [unrolled: 1-line block ×3, first 2 shown]
	v_dual_mov_b32 v2, v3 :: v_dual_mov_b32 v1, v4
	s_delay_alu instid0(VALU_DEP_2)
	v_mov_b32_e32 v0, v5
	s_branch .LBB3_11
.LBB3_10:
                                        ; implicit-def: $vgpr2
                                        ; implicit-def: $vgpr1
                                        ; implicit-def: $vgpr0
.LBB3_11:
	s_and_not1_b32 vcc_lo, exec_lo, s19
	s_cbranch_vccnz .LBB3_14
; %bb.12:
	v_mul_hi_u32 v0, s6, v8
	s_and_not1_b32 vcc_lo, exec_lo, s11
	s_delay_alu instid0(VALU_DEP_1) | instskip(NEXT) | instid1(VALU_DEP_1)
	v_add_nc_u32_e32 v0, v8, v0
	v_lshrrev_b32_e32 v3, s7, v0
	s_delay_alu instid0(VALU_DEP_1) | instskip(NEXT) | instid1(VALU_DEP_1)
	v_mul_lo_u32 v0, v3, s5
	v_sub_nc_u32_e32 v0, v8, v0
	s_delay_alu instid0(VALU_DEP_1)
	v_mul_lo_u32 v2, v0, s24
	v_mul_lo_u32 v1, v0, s25
	;; [unrolled: 1-line block ×3, first 2 shown]
	s_cbranch_vccnz .LBB3_14
; %bb.13:
	v_mul_hi_u32 v4, s9, v3
	s_delay_alu instid0(VALU_DEP_1) | instskip(NEXT) | instid1(VALU_DEP_1)
	v_add_nc_u32_e32 v4, v3, v4
	v_lshrrev_b32_e32 v4, s10, v4
	s_delay_alu instid0(VALU_DEP_1) | instskip(NEXT) | instid1(VALU_DEP_1)
	v_mul_lo_u32 v4, v4, s8
	v_sub_nc_u32_e32 v7, v3, v4
	s_delay_alu instid0(VALU_DEP_1) | instskip(SKIP_2) | instid1(VALU_DEP_2)
	v_mad_u64_u32 v[3:4], null, v7, s27, v[2:3]
	v_mad_u64_u32 v[4:5], null, v7, s12, v[1:2]
	;; [unrolled: 1-line block ×3, first 2 shown]
	v_dual_mov_b32 v2, v3 :: v_dual_mov_b32 v1, v4
	s_delay_alu instid0(VALU_DEP_2)
	v_mov_b32_e32 v0, v5
.LBB3_14:
	s_and_not1_b32 vcc_lo, exec_lo, s4
	s_cbranch_vccnz .LBB3_17
; %bb.15:
	global_load_b64 v[6:7], v2, s[20:21]
	v_add_co_u32 v2, s14, s20, v2
	s_delay_alu instid0(VALU_DEP_1) | instskip(SKIP_1) | instid1(VALU_DEP_1)
	v_add_co_ci_u32_e64 v3, null, s21, 0, s14
	v_add_co_u32 v4, s14, s22, v1
	v_add_co_ci_u32_e64 v5, null, s23, 0, s14
	v_add_co_u32 v0, s14, s2, v0
	s_delay_alu instid0(VALU_DEP_1)
	v_add_co_ci_u32_e64 v1, null, s3, 0, s14
	s_ashr_i32 s19, s18, 31
	s_ashr_i32 s29, s17, 31
	s_mov_b32 s28, s17
	s_lshl_b64 s[14:15], s[18:19], 3
	s_lshl_b64 s[28:29], s[28:29], 3
	s_mov_b32 s19, s16
	.p2align	6
.LBB3_16:                               ; =>This Inner Loop Header: Depth=1
	global_load_b64 v[10:11], v[4:5], off
	global_load_b64 v[12:13], v[0:1], off
	v_add_co_u32 v0, vcc_lo, v0, s14
	v_add_co_ci_u32_e32 v1, vcc_lo, s15, v1, vcc_lo
	v_add_co_u32 v4, vcc_lo, v4, s28
	v_add_co_ci_u32_e32 v5, vcc_lo, s29, v5, vcc_lo
	s_add_i32 s19, s19, -1
	s_delay_alu instid0(SALU_CYCLE_1) | instskip(SKIP_4) | instid1(VALU_DEP_1)
	s_cmp_lg_u32 s19, 0
	s_waitcnt vmcnt(0)
	v_mad_u64_u32 v[14:15], null, v12, v10, v[6:7]
	v_mul_lo_u32 v6, v12, v11
	v_mul_lo_u32 v7, v13, v10
	v_add3_u32 v15, v7, v15, v6
	s_delay_alu instid0(VALU_DEP_1)
	v_dual_mov_b32 v6, v14 :: v_dual_mov_b32 v7, v15
	global_store_b64 v[2:3], v[14:15], off
	s_cbranch_scc1 .LBB3_16
.LBB3_17:
	v_add_nc_u32_e32 v8, 0x100, v8
	s_or_b32 exec_lo, exec_lo, s34
	s_delay_alu instid0(SALU_CYCLE_1) | instskip(NEXT) | instid1(VALU_DEP_1)
	s_mov_b32 s34, exec_lo
	v_cmpx_gt_i32_e64 s31, v8
	s_cbranch_execz .LBB3_2
.LBB3_18:
	v_cmp_ne_u32_e32 vcc_lo, 1, v9
	s_cbranch_vccnz .LBB3_24
; %bb.19:
	v_dual_mov_b32 v2, 0 :: v_dual_mov_b32 v1, 0
	v_mov_b32_e32 v0, 0
	s_and_not1_b32 vcc_lo, exec_lo, s33
	s_mov_b32 s19, 0
	s_cbranch_vccnz .LBB3_25
; %bb.20:
	s_add_i32 s14, s30, 1
	v_dual_mov_b32 v0, 0 :: v_dual_mov_b32 v1, 0
	v_dual_mov_b32 v2, 0 :: v_dual_mov_b32 v3, v8
	s_and_b32 s28, s14, 30
	s_add_u32 s14, s0, 0xffffffec
	s_addc_u32 s15, s1, -1
	s_set_inst_prefetch_distance 0x1
	.p2align	6
.LBB3_21:                               ; =>This Inner Loop Header: Depth=1
	s_clause 0x2
	s_load_b128 s[36:39], s[14:15], 0x18
	s_load_b64 s[44:45], s[14:15], 0x28
	s_load_b128 s[40:43], s[14:15], 0xd8
	s_waitcnt lgkmcnt(0)
	v_mul_hi_u32 v4, s37, v3
	s_delay_alu instid0(VALU_DEP_1) | instskip(NEXT) | instid1(VALU_DEP_1)
	v_add_nc_u32_e32 v4, v3, v4
	v_lshrrev_b32_e32 v4, s38, v4
	s_delay_alu instid0(VALU_DEP_1)
	v_mul_hi_u32 v5, s44, v4
	v_mul_lo_u32 v6, v4, s36
	s_load_b64 s[36:37], s[14:15], 0xe8
	s_add_u32 s14, s14, 24
	s_addc_u32 s15, s15, 0
	s_add_i32 s28, s28, -2
	s_delay_alu instid0(SALU_CYCLE_1) | instskip(NEXT) | instid1(VALU_DEP_2)
	s_cmp_eq_u32 s28, 0
	v_add_nc_u32_e32 v5, v4, v5
	s_delay_alu instid0(VALU_DEP_2) | instskip(NEXT) | instid1(VALU_DEP_2)
	v_sub_nc_u32_e32 v6, v3, v6
	v_lshrrev_b32_e32 v3, s45, v5
	s_delay_alu instid0(VALU_DEP_2) | instskip(NEXT) | instid1(VALU_DEP_2)
	v_mul_lo_u32 v7, v6, s40
	v_mul_lo_u32 v5, v3, s39
	s_delay_alu instid0(VALU_DEP_1) | instskip(SKIP_2) | instid1(VALU_DEP_3)
	v_sub_nc_u32_e32 v4, v4, v5
	v_mul_lo_u32 v5, v6, s41
	v_mul_lo_u32 v6, v6, s42
	;; [unrolled: 1-line block ×3, first 2 shown]
	s_waitcnt lgkmcnt(0)
	v_mul_lo_u32 v11, v4, s36
	v_mul_lo_u32 v4, v4, s37
	s_delay_alu instid0(VALU_DEP_3) | instskip(NEXT) | instid1(VALU_DEP_3)
	v_add3_u32 v2, v7, v2, v10
	v_add3_u32 v1, v5, v1, v11
	s_delay_alu instid0(VALU_DEP_3)
	v_add3_u32 v0, v6, v0, v4
	s_cbranch_scc0 .LBB3_21
; %bb.22:
	s_set_inst_prefetch_distance 0x2
	s_bitcmp1_b32 s30, 0
	s_cselect_b32 s28, -1, 0
	s_delay_alu instid0(SALU_CYCLE_1)
	s_and_b32 vcc_lo, exec_lo, s28
	s_cbranch_vccnz .LBB3_25
; %bb.23:
	s_clause 0x3
	s_load_b64 s[28:29], s[14:15], 0x18
	s_load_b32 s35, s[14:15], 0x20
	s_load_b64 s[36:37], s[14:15], 0xd8
	s_load_b32 s14, s[14:15], 0xe0
	s_waitcnt lgkmcnt(0)
	v_mul_hi_u32 v4, s29, v3
	s_delay_alu instid0(VALU_DEP_1) | instskip(NEXT) | instid1(VALU_DEP_1)
	v_add_nc_u32_e32 v4, v3, v4
	v_lshrrev_b32_e32 v4, s35, v4
	s_delay_alu instid0(VALU_DEP_1) | instskip(NEXT) | instid1(VALU_DEP_1)
	v_mul_lo_u32 v4, v4, s28
	v_sub_nc_u32_e32 v7, v3, v4
	s_delay_alu instid0(VALU_DEP_1) | instskip(SKIP_2) | instid1(VALU_DEP_2)
	v_mad_u64_u32 v[3:4], null, v7, s36, v[2:3]
	v_mad_u64_u32 v[4:5], null, v7, s37, v[1:2]
	;; [unrolled: 1-line block ×3, first 2 shown]
	v_dual_mov_b32 v2, v3 :: v_dual_mov_b32 v1, v4
	s_delay_alu instid0(VALU_DEP_2)
	v_mov_b32_e32 v0, v5
	s_branch .LBB3_25
.LBB3_24:
	s_mov_b32 s19, -1
                                        ; implicit-def: $vgpr2
                                        ; implicit-def: $vgpr1
                                        ; implicit-def: $vgpr0
.LBB3_25:
	s_delay_alu instid0(SALU_CYCLE_1)
	s_and_not1_b32 vcc_lo, exec_lo, s19
	s_cbranch_vccnz .LBB3_28
; %bb.26:
	v_mul_hi_u32 v0, s6, v8
	s_and_not1_b32 vcc_lo, exec_lo, s11
	s_delay_alu instid0(VALU_DEP_1) | instskip(NEXT) | instid1(VALU_DEP_1)
	v_add_nc_u32_e32 v0, v8, v0
	v_lshrrev_b32_e32 v3, s7, v0
	s_delay_alu instid0(VALU_DEP_1) | instskip(NEXT) | instid1(VALU_DEP_1)
	v_mul_lo_u32 v0, v3, s5
	v_sub_nc_u32_e32 v0, v8, v0
	s_delay_alu instid0(VALU_DEP_1)
	v_mul_lo_u32 v2, v0, s24
	v_mul_lo_u32 v1, v0, s25
	;; [unrolled: 1-line block ×3, first 2 shown]
	s_cbranch_vccnz .LBB3_28
; %bb.27:
	v_mul_hi_u32 v4, s9, v3
	s_delay_alu instid0(VALU_DEP_1) | instskip(NEXT) | instid1(VALU_DEP_1)
	v_add_nc_u32_e32 v4, v3, v4
	v_lshrrev_b32_e32 v4, s10, v4
	s_delay_alu instid0(VALU_DEP_1) | instskip(NEXT) | instid1(VALU_DEP_1)
	v_mul_lo_u32 v4, v4, s8
	v_sub_nc_u32_e32 v7, v3, v4
	s_delay_alu instid0(VALU_DEP_1) | instskip(SKIP_2) | instid1(VALU_DEP_2)
	v_mad_u64_u32 v[3:4], null, v7, s27, v[2:3]
	v_mad_u64_u32 v[4:5], null, v7, s12, v[1:2]
	;; [unrolled: 1-line block ×3, first 2 shown]
	v_dual_mov_b32 v2, v3 :: v_dual_mov_b32 v1, v4
	s_delay_alu instid0(VALU_DEP_2)
	v_mov_b32_e32 v0, v5
.LBB3_28:
	s_and_not1_b32 vcc_lo, exec_lo, s4
	s_cbranch_vccnz .LBB3_31
; %bb.29:
	global_load_b64 v[6:7], v2, s[20:21]
	v_add_co_u32 v2, s14, s20, v2
	s_delay_alu instid0(VALU_DEP_1) | instskip(SKIP_1) | instid1(VALU_DEP_1)
	v_add_co_ci_u32_e64 v3, null, s21, 0, s14
	v_add_co_u32 v4, s14, s22, v1
	v_add_co_ci_u32_e64 v5, null, s23, 0, s14
	v_add_co_u32 v0, s14, s2, v0
	s_delay_alu instid0(VALU_DEP_1)
	v_add_co_ci_u32_e64 v1, null, s3, 0, s14
	s_ashr_i32 s19, s18, 31
	s_ashr_i32 s29, s17, 31
	s_mov_b32 s28, s17
	s_lshl_b64 s[14:15], s[18:19], 3
	s_lshl_b64 s[28:29], s[28:29], 3
	s_mov_b32 s19, s16
	.p2align	6
.LBB3_30:                               ; =>This Inner Loop Header: Depth=1
	global_load_b64 v[10:11], v[4:5], off
	global_load_b64 v[12:13], v[0:1], off
	v_add_co_u32 v0, vcc_lo, v0, s14
	v_add_co_ci_u32_e32 v1, vcc_lo, s15, v1, vcc_lo
	v_add_co_u32 v4, vcc_lo, v4, s28
	v_add_co_ci_u32_e32 v5, vcc_lo, s29, v5, vcc_lo
	s_add_i32 s19, s19, -1
	s_delay_alu instid0(SALU_CYCLE_1) | instskip(SKIP_4) | instid1(VALU_DEP_1)
	s_cmp_lg_u32 s19, 0
	s_waitcnt vmcnt(0)
	v_mad_u64_u32 v[14:15], null, v12, v10, v[6:7]
	v_mul_lo_u32 v6, v12, v11
	v_mul_lo_u32 v7, v13, v10
	v_add3_u32 v15, v7, v15, v6
	s_delay_alu instid0(VALU_DEP_1)
	v_dual_mov_b32 v6, v14 :: v_dual_mov_b32 v7, v15
	global_store_b64 v[2:3], v[14:15], off
	s_cbranch_scc1 .LBB3_30
.LBB3_31:
	v_add_nc_u32_e32 v8, 0x100, v8
	s_or_b32 exec_lo, exec_lo, s34
	s_delay_alu instid0(SALU_CYCLE_1) | instskip(NEXT) | instid1(VALU_DEP_1)
	s_mov_b32 s34, exec_lo
	v_cmpx_gt_i32_e64 s31, v8
	s_cbranch_execz .LBB3_3
.LBB3_32:
	v_cmp_ne_u32_e32 vcc_lo, 1, v9
	s_cbranch_vccnz .LBB3_38
; %bb.33:
	v_dual_mov_b32 v2, 0 :: v_dual_mov_b32 v1, 0
	v_mov_b32_e32 v0, 0
	s_and_not1_b32 vcc_lo, exec_lo, s33
	s_mov_b32 s19, 0
	s_cbranch_vccnz .LBB3_39
; %bb.34:
	s_add_i32 s14, s30, 1
	v_dual_mov_b32 v0, 0 :: v_dual_mov_b32 v1, 0
	v_dual_mov_b32 v2, 0 :: v_dual_mov_b32 v3, v8
	s_and_b32 s28, s14, 30
	s_add_u32 s14, s0, 0xffffffec
	s_addc_u32 s15, s1, -1
	s_set_inst_prefetch_distance 0x1
	.p2align	6
.LBB3_35:                               ; =>This Inner Loop Header: Depth=1
	s_clause 0x2
	s_load_b128 s[36:39], s[14:15], 0x18
	s_load_b64 s[44:45], s[14:15], 0x28
	s_load_b128 s[40:43], s[14:15], 0xd8
	s_waitcnt lgkmcnt(0)
	v_mul_hi_u32 v4, s37, v3
	s_delay_alu instid0(VALU_DEP_1) | instskip(NEXT) | instid1(VALU_DEP_1)
	v_add_nc_u32_e32 v4, v3, v4
	v_lshrrev_b32_e32 v4, s38, v4
	s_delay_alu instid0(VALU_DEP_1)
	v_mul_hi_u32 v5, s44, v4
	v_mul_lo_u32 v6, v4, s36
	s_load_b64 s[36:37], s[14:15], 0xe8
	s_add_u32 s14, s14, 24
	s_addc_u32 s15, s15, 0
	s_add_i32 s28, s28, -2
	s_delay_alu instid0(SALU_CYCLE_1) | instskip(NEXT) | instid1(VALU_DEP_2)
	s_cmp_eq_u32 s28, 0
	v_add_nc_u32_e32 v5, v4, v5
	s_delay_alu instid0(VALU_DEP_2) | instskip(NEXT) | instid1(VALU_DEP_2)
	v_sub_nc_u32_e32 v6, v3, v6
	v_lshrrev_b32_e32 v3, s45, v5
	s_delay_alu instid0(VALU_DEP_2) | instskip(NEXT) | instid1(VALU_DEP_2)
	v_mul_lo_u32 v7, v6, s40
	v_mul_lo_u32 v5, v3, s39
	s_delay_alu instid0(VALU_DEP_1) | instskip(SKIP_2) | instid1(VALU_DEP_3)
	v_sub_nc_u32_e32 v4, v4, v5
	v_mul_lo_u32 v5, v6, s41
	v_mul_lo_u32 v6, v6, s42
	;; [unrolled: 1-line block ×3, first 2 shown]
	s_waitcnt lgkmcnt(0)
	v_mul_lo_u32 v11, v4, s36
	v_mul_lo_u32 v4, v4, s37
	s_delay_alu instid0(VALU_DEP_3) | instskip(NEXT) | instid1(VALU_DEP_3)
	v_add3_u32 v2, v7, v2, v10
	v_add3_u32 v1, v5, v1, v11
	s_delay_alu instid0(VALU_DEP_3)
	v_add3_u32 v0, v6, v0, v4
	s_cbranch_scc0 .LBB3_35
; %bb.36:
	s_set_inst_prefetch_distance 0x2
	s_bitcmp1_b32 s30, 0
	s_cselect_b32 s28, -1, 0
	s_delay_alu instid0(SALU_CYCLE_1)
	s_and_b32 vcc_lo, exec_lo, s28
	s_cbranch_vccnz .LBB3_39
; %bb.37:
	s_clause 0x3
	s_load_b64 s[28:29], s[14:15], 0x18
	s_load_b32 s35, s[14:15], 0x20
	s_load_b64 s[36:37], s[14:15], 0xd8
	s_load_b32 s14, s[14:15], 0xe0
	s_waitcnt lgkmcnt(0)
	v_mul_hi_u32 v4, s29, v3
	s_delay_alu instid0(VALU_DEP_1) | instskip(NEXT) | instid1(VALU_DEP_1)
	v_add_nc_u32_e32 v4, v3, v4
	v_lshrrev_b32_e32 v4, s35, v4
	s_delay_alu instid0(VALU_DEP_1) | instskip(NEXT) | instid1(VALU_DEP_1)
	v_mul_lo_u32 v4, v4, s28
	v_sub_nc_u32_e32 v7, v3, v4
	s_delay_alu instid0(VALU_DEP_1) | instskip(SKIP_2) | instid1(VALU_DEP_2)
	v_mad_u64_u32 v[3:4], null, v7, s36, v[2:3]
	v_mad_u64_u32 v[4:5], null, v7, s37, v[1:2]
	v_mad_u64_u32 v[5:6], null, v7, s14, v[0:1]
	v_dual_mov_b32 v2, v3 :: v_dual_mov_b32 v1, v4
	s_delay_alu instid0(VALU_DEP_2)
	v_mov_b32_e32 v0, v5
	s_branch .LBB3_39
.LBB3_38:
	s_mov_b32 s19, -1
                                        ; implicit-def: $vgpr2
                                        ; implicit-def: $vgpr1
                                        ; implicit-def: $vgpr0
.LBB3_39:
	s_delay_alu instid0(SALU_CYCLE_1)
	s_and_not1_b32 vcc_lo, exec_lo, s19
	s_cbranch_vccnz .LBB3_42
; %bb.40:
	v_mul_hi_u32 v0, s6, v8
	s_and_not1_b32 vcc_lo, exec_lo, s11
	s_delay_alu instid0(VALU_DEP_1) | instskip(NEXT) | instid1(VALU_DEP_1)
	v_add_nc_u32_e32 v0, v8, v0
	v_lshrrev_b32_e32 v3, s7, v0
	s_delay_alu instid0(VALU_DEP_1) | instskip(NEXT) | instid1(VALU_DEP_1)
	v_mul_lo_u32 v0, v3, s5
	v_sub_nc_u32_e32 v0, v8, v0
	s_delay_alu instid0(VALU_DEP_1)
	v_mul_lo_u32 v2, v0, s24
	v_mul_lo_u32 v1, v0, s25
	;; [unrolled: 1-line block ×3, first 2 shown]
	s_cbranch_vccnz .LBB3_42
; %bb.41:
	v_mul_hi_u32 v4, s9, v3
	s_delay_alu instid0(VALU_DEP_1) | instskip(NEXT) | instid1(VALU_DEP_1)
	v_add_nc_u32_e32 v4, v3, v4
	v_lshrrev_b32_e32 v4, s10, v4
	s_delay_alu instid0(VALU_DEP_1) | instskip(NEXT) | instid1(VALU_DEP_1)
	v_mul_lo_u32 v4, v4, s8
	v_sub_nc_u32_e32 v7, v3, v4
	s_delay_alu instid0(VALU_DEP_1) | instskip(SKIP_2) | instid1(VALU_DEP_2)
	v_mad_u64_u32 v[3:4], null, v7, s27, v[2:3]
	v_mad_u64_u32 v[4:5], null, v7, s12, v[1:2]
	v_mad_u64_u32 v[5:6], null, v7, s13, v[0:1]
	v_dual_mov_b32 v2, v3 :: v_dual_mov_b32 v1, v4
	s_delay_alu instid0(VALU_DEP_2)
	v_mov_b32_e32 v0, v5
.LBB3_42:
	s_and_not1_b32 vcc_lo, exec_lo, s4
	s_cbranch_vccnz .LBB3_45
; %bb.43:
	global_load_b64 v[6:7], v2, s[20:21]
	v_add_co_u32 v2, s14, s20, v2
	s_delay_alu instid0(VALU_DEP_1) | instskip(SKIP_1) | instid1(VALU_DEP_1)
	v_add_co_ci_u32_e64 v3, null, s21, 0, s14
	v_add_co_u32 v4, s14, s22, v1
	v_add_co_ci_u32_e64 v5, null, s23, 0, s14
	v_add_co_u32 v0, s14, s2, v0
	s_delay_alu instid0(VALU_DEP_1)
	v_add_co_ci_u32_e64 v1, null, s3, 0, s14
	s_ashr_i32 s19, s18, 31
	s_ashr_i32 s29, s17, 31
	s_mov_b32 s28, s17
	s_lshl_b64 s[14:15], s[18:19], 3
	s_lshl_b64 s[28:29], s[28:29], 3
	s_mov_b32 s19, s16
	.p2align	6
.LBB3_44:                               ; =>This Inner Loop Header: Depth=1
	global_load_b64 v[10:11], v[4:5], off
	global_load_b64 v[12:13], v[0:1], off
	v_add_co_u32 v0, vcc_lo, v0, s14
	v_add_co_ci_u32_e32 v1, vcc_lo, s15, v1, vcc_lo
	v_add_co_u32 v4, vcc_lo, v4, s28
	v_add_co_ci_u32_e32 v5, vcc_lo, s29, v5, vcc_lo
	s_add_i32 s19, s19, -1
	s_delay_alu instid0(SALU_CYCLE_1) | instskip(SKIP_4) | instid1(VALU_DEP_1)
	s_cmp_lg_u32 s19, 0
	s_waitcnt vmcnt(0)
	v_mad_u64_u32 v[14:15], null, v12, v10, v[6:7]
	v_mul_lo_u32 v6, v12, v11
	v_mul_lo_u32 v7, v13, v10
	v_add3_u32 v15, v7, v15, v6
	s_delay_alu instid0(VALU_DEP_1)
	v_dual_mov_b32 v6, v14 :: v_dual_mov_b32 v7, v15
	global_store_b64 v[2:3], v[14:15], off
	s_cbranch_scc1 .LBB3_44
.LBB3_45:
	v_add_nc_u32_e32 v8, 0x100, v8
	s_or_b32 exec_lo, exec_lo, s34
	s_delay_alu instid0(SALU_CYCLE_1) | instskip(NEXT) | instid1(VALU_DEP_1)
	s_mov_b32 s14, exec_lo
	v_cmpx_gt_i32_e64 s31, v8
	s_cbranch_execz .LBB3_59
.LBB3_46:
	v_cmp_ne_u32_e32 vcc_lo, 1, v9
	s_cbranch_vccnz .LBB3_52
; %bb.47:
	v_dual_mov_b32 v2, 0 :: v_dual_mov_b32 v1, 0
	v_mov_b32_e32 v0, 0
	s_and_not1_b32 vcc_lo, exec_lo, s33
	s_mov_b32 s14, 0
	s_cbranch_vccnz .LBB3_53
; %bb.48:
	s_add_i32 s15, s30, 1
	v_dual_mov_b32 v0, 0 :: v_dual_mov_b32 v1, 0
	v_dual_mov_b32 v2, 0 :: v_dual_mov_b32 v3, v8
	s_and_b32 s15, s15, 30
	s_add_u32 s0, s0, 0xffffffec
	s_addc_u32 s1, s1, -1
	s_set_inst_prefetch_distance 0x1
	.p2align	6
.LBB3_49:                               ; =>This Inner Loop Header: Depth=1
	s_clause 0x3
	s_load_b128 s[36:39], s[0:1], 0x18
	s_load_b64 s[28:29], s[0:1], 0x28
	s_load_b128 s[40:43], s[0:1], 0xd8
	s_load_b64 s[34:35], s[0:1], 0xe8
	s_add_u32 s0, s0, 24
	s_addc_u32 s1, s1, 0
	s_add_i32 s15, s15, -2
	s_delay_alu instid0(SALU_CYCLE_1) | instskip(SKIP_2) | instid1(VALU_DEP_1)
	s_cmp_eq_u32 s15, 0
	s_waitcnt lgkmcnt(0)
	v_mul_hi_u32 v4, s37, v3
	v_add_nc_u32_e32 v4, v3, v4
	s_delay_alu instid0(VALU_DEP_1) | instskip(NEXT) | instid1(VALU_DEP_1)
	v_lshrrev_b32_e32 v4, s38, v4
	v_mul_hi_u32 v5, s28, v4
	v_mul_lo_u32 v6, v4, s36
	s_delay_alu instid0(VALU_DEP_2) | instskip(NEXT) | instid1(VALU_DEP_2)
	v_add_nc_u32_e32 v5, v4, v5
	v_sub_nc_u32_e32 v6, v3, v6
	s_delay_alu instid0(VALU_DEP_2) | instskip(NEXT) | instid1(VALU_DEP_2)
	v_lshrrev_b32_e32 v3, s29, v5
	v_mul_lo_u32 v7, v6, s40
	s_delay_alu instid0(VALU_DEP_2) | instskip(NEXT) | instid1(VALU_DEP_1)
	v_mul_lo_u32 v5, v3, s39
	v_sub_nc_u32_e32 v4, v4, v5
	v_mul_lo_u32 v5, v6, s41
	v_mul_lo_u32 v6, v6, s42
	s_delay_alu instid0(VALU_DEP_3) | instskip(SKIP_2) | instid1(VALU_DEP_3)
	v_mul_lo_u32 v9, v4, s43
	v_mul_lo_u32 v10, v4, s34
	;; [unrolled: 1-line block ×3, first 2 shown]
	v_add3_u32 v2, v7, v2, v9
	s_delay_alu instid0(VALU_DEP_3) | instskip(NEXT) | instid1(VALU_DEP_3)
	v_add3_u32 v1, v5, v1, v10
	v_add3_u32 v0, v6, v0, v4
	s_cbranch_scc0 .LBB3_49
; %bb.50:
	s_set_inst_prefetch_distance 0x2
	s_bitcmp1_b32 s30, 0
	s_cselect_b32 s15, -1, 0
	s_delay_alu instid0(SALU_CYCLE_1)
	s_and_b32 vcc_lo, exec_lo, s15
	s_cbranch_vccnz .LBB3_53
; %bb.51:
	s_clause 0x3
	s_load_b64 s[28:29], s[0:1], 0x18
	s_load_b32 s15, s[0:1], 0x20
	s_load_b64 s[30:31], s[0:1], 0xd8
	s_load_b32 s0, s[0:1], 0xe0
	s_waitcnt lgkmcnt(0)
	v_mul_hi_u32 v4, s29, v3
	s_delay_alu instid0(VALU_DEP_1) | instskip(NEXT) | instid1(VALU_DEP_1)
	v_add_nc_u32_e32 v4, v3, v4
	v_lshrrev_b32_e32 v4, s15, v4
	s_delay_alu instid0(VALU_DEP_1) | instskip(NEXT) | instid1(VALU_DEP_1)
	v_mul_lo_u32 v4, v4, s28
	v_sub_nc_u32_e32 v7, v3, v4
	s_delay_alu instid0(VALU_DEP_1) | instskip(SKIP_2) | instid1(VALU_DEP_2)
	v_mad_u64_u32 v[3:4], null, v7, s30, v[2:3]
	v_mad_u64_u32 v[4:5], null, v7, s31, v[1:2]
	;; [unrolled: 1-line block ×3, first 2 shown]
	v_dual_mov_b32 v2, v3 :: v_dual_mov_b32 v1, v4
	s_delay_alu instid0(VALU_DEP_2)
	v_mov_b32_e32 v0, v5
	s_branch .LBB3_53
.LBB3_52:
	s_mov_b32 s14, -1
                                        ; implicit-def: $vgpr2
                                        ; implicit-def: $vgpr1
                                        ; implicit-def: $vgpr0
.LBB3_53:
	s_delay_alu instid0(SALU_CYCLE_1)
	s_and_not1_b32 vcc_lo, exec_lo, s14
	s_cbranch_vccnz .LBB3_56
; %bb.54:
	v_mul_hi_u32 v0, s6, v8
	s_and_not1_b32 vcc_lo, exec_lo, s11
	s_delay_alu instid0(VALU_DEP_1) | instskip(NEXT) | instid1(VALU_DEP_1)
	v_add_nc_u32_e32 v0, v8, v0
	v_lshrrev_b32_e32 v3, s7, v0
	s_delay_alu instid0(VALU_DEP_1) | instskip(NEXT) | instid1(VALU_DEP_1)
	v_mul_lo_u32 v0, v3, s5
	v_sub_nc_u32_e32 v0, v8, v0
	s_delay_alu instid0(VALU_DEP_1)
	v_mul_lo_u32 v2, v0, s24
	v_mul_lo_u32 v1, v0, s25
	;; [unrolled: 1-line block ×3, first 2 shown]
	s_cbranch_vccnz .LBB3_56
; %bb.55:
	v_mul_hi_u32 v4, s9, v3
	s_delay_alu instid0(VALU_DEP_1) | instskip(NEXT) | instid1(VALU_DEP_1)
	v_add_nc_u32_e32 v4, v3, v4
	v_lshrrev_b32_e32 v4, s10, v4
	s_delay_alu instid0(VALU_DEP_1) | instskip(NEXT) | instid1(VALU_DEP_1)
	v_mul_lo_u32 v4, v4, s8
	v_sub_nc_u32_e32 v7, v3, v4
	s_delay_alu instid0(VALU_DEP_1) | instskip(SKIP_2) | instid1(VALU_DEP_2)
	v_mad_u64_u32 v[3:4], null, v7, s27, v[2:3]
	v_mad_u64_u32 v[4:5], null, v7, s12, v[1:2]
	v_mad_u64_u32 v[5:6], null, v7, s13, v[0:1]
	v_dual_mov_b32 v2, v3 :: v_dual_mov_b32 v1, v4
	s_delay_alu instid0(VALU_DEP_2)
	v_mov_b32_e32 v0, v5
.LBB3_56:
	s_and_not1_b32 vcc_lo, exec_lo, s4
	s_cbranch_vccnz .LBB3_59
; %bb.57:
	global_load_b64 v[6:7], v2, s[20:21]
	v_add_co_u32 v2, s0, s20, v2
	s_delay_alu instid0(VALU_DEP_1) | instskip(SKIP_1) | instid1(VALU_DEP_1)
	v_add_co_ci_u32_e64 v3, null, s21, 0, s0
	v_add_co_u32 v4, s0, s22, v1
	v_add_co_ci_u32_e64 v5, null, s23, 0, s0
	v_add_co_u32 v0, s0, s2, v0
	s_delay_alu instid0(VALU_DEP_1)
	v_add_co_ci_u32_e64 v1, null, s3, 0, s0
	s_ashr_i32 s19, s18, 31
	s_ashr_i32 s3, s17, 31
	s_mov_b32 s2, s17
	s_lshl_b64 s[0:1], s[18:19], 3
	s_lshl_b64 s[2:3], s[2:3], 3
	.p2align	6
.LBB3_58:                               ; =>This Inner Loop Header: Depth=1
	global_load_b64 v[8:9], v[4:5], off
	global_load_b64 v[10:11], v[0:1], off
	v_add_co_u32 v0, vcc_lo, v0, s0
	v_add_co_ci_u32_e32 v1, vcc_lo, s1, v1, vcc_lo
	v_add_co_u32 v4, vcc_lo, v4, s2
	v_add_co_ci_u32_e32 v5, vcc_lo, s3, v5, vcc_lo
	s_add_i32 s16, s16, -1
	s_delay_alu instid0(SALU_CYCLE_1) | instskip(SKIP_4) | instid1(VALU_DEP_1)
	s_cmp_lg_u32 s16, 0
	s_waitcnt vmcnt(0)
	v_mad_u64_u32 v[12:13], null, v10, v8, v[6:7]
	v_mul_lo_u32 v6, v10, v9
	v_mul_lo_u32 v7, v11, v8
	v_add3_u32 v13, v7, v13, v6
	s_delay_alu instid0(VALU_DEP_1)
	v_dual_mov_b32 v6, v12 :: v_dual_mov_b32 v7, v13
	global_store_b64 v[2:3], v[12:13], off
	s_cbranch_scc1 .LBB3_58
.LBB3_59:
	s_nop 0
	s_sendmsg sendmsg(MSG_DEALLOC_VGPRS)
	s_endpgm
	.section	.rodata,"a",@progbits
	.p2align	6, 0x0
	.amdhsa_kernel _ZN2at6native12_GLOBAL__N_116_elemwise_kernelILi256ELi4EZNS1_43_compute_linear_combination_internal_kernelIlEEvRNS_14TensorIteratorEiiiEUliE_EEviT1_
		.amdhsa_group_segment_fixed_size 0
		.amdhsa_private_segment_fixed_size 0
		.amdhsa_kernarg_size 440
		.amdhsa_user_sgpr_count 15
		.amdhsa_user_sgpr_dispatch_ptr 0
		.amdhsa_user_sgpr_queue_ptr 0
		.amdhsa_user_sgpr_kernarg_segment_ptr 1
		.amdhsa_user_sgpr_dispatch_id 0
		.amdhsa_user_sgpr_private_segment_size 0
		.amdhsa_wavefront_size32 1
		.amdhsa_uses_dynamic_stack 0
		.amdhsa_enable_private_segment 0
		.amdhsa_system_sgpr_workgroup_id_x 1
		.amdhsa_system_sgpr_workgroup_id_y 0
		.amdhsa_system_sgpr_workgroup_id_z 0
		.amdhsa_system_sgpr_workgroup_info 0
		.amdhsa_system_vgpr_workitem_id 0
		.amdhsa_next_free_vgpr 16
		.amdhsa_next_free_sgpr 46
		.amdhsa_reserve_vcc 1
		.amdhsa_float_round_mode_32 0
		.amdhsa_float_round_mode_16_64 0
		.amdhsa_float_denorm_mode_32 3
		.amdhsa_float_denorm_mode_16_64 3
		.amdhsa_dx10_clamp 1
		.amdhsa_ieee_mode 1
		.amdhsa_fp16_overflow 0
		.amdhsa_workgroup_processor_mode 1
		.amdhsa_memory_ordered 1
		.amdhsa_forward_progress 0
		.amdhsa_shared_vgpr_count 0
		.amdhsa_exception_fp_ieee_invalid_op 0
		.amdhsa_exception_fp_denorm_src 0
		.amdhsa_exception_fp_ieee_div_zero 0
		.amdhsa_exception_fp_ieee_overflow 0
		.amdhsa_exception_fp_ieee_underflow 0
		.amdhsa_exception_fp_ieee_inexact 0
		.amdhsa_exception_int_div_zero 0
	.end_amdhsa_kernel
	.section	.text._ZN2at6native12_GLOBAL__N_116_elemwise_kernelILi256ELi4EZNS1_43_compute_linear_combination_internal_kernelIlEEvRNS_14TensorIteratorEiiiEUliE_EEviT1_,"axG",@progbits,_ZN2at6native12_GLOBAL__N_116_elemwise_kernelILi256ELi4EZNS1_43_compute_linear_combination_internal_kernelIlEEvRNS_14TensorIteratorEiiiEUliE_EEviT1_,comdat
.Lfunc_end3:
	.size	_ZN2at6native12_GLOBAL__N_116_elemwise_kernelILi256ELi4EZNS1_43_compute_linear_combination_internal_kernelIlEEvRNS_14TensorIteratorEiiiEUliE_EEviT1_, .Lfunc_end3-_ZN2at6native12_GLOBAL__N_116_elemwise_kernelILi256ELi4EZNS1_43_compute_linear_combination_internal_kernelIlEEvRNS_14TensorIteratorEiiiEUliE_EEviT1_
                                        ; -- End function
	.section	.AMDGPU.csdata,"",@progbits
; Kernel info:
; codeLenInByte = 3592
; NumSgprs: 48
; NumVgprs: 16
; ScratchSize: 0
; MemoryBound: 0
; FloatMode: 240
; IeeeMode: 1
; LDSByteSize: 0 bytes/workgroup (compile time only)
; SGPRBlocks: 5
; VGPRBlocks: 1
; NumSGPRsForWavesPerEU: 48
; NumVGPRsForWavesPerEU: 16
; Occupancy: 16
; WaveLimiterHint : 1
; COMPUTE_PGM_RSRC2:SCRATCH_EN: 0
; COMPUTE_PGM_RSRC2:USER_SGPR: 15
; COMPUTE_PGM_RSRC2:TRAP_HANDLER: 0
; COMPUTE_PGM_RSRC2:TGID_X_EN: 1
; COMPUTE_PGM_RSRC2:TGID_Y_EN: 0
; COMPUTE_PGM_RSRC2:TGID_Z_EN: 0
; COMPUTE_PGM_RSRC2:TIDIG_COMP_CNT: 0
	.section	.text._ZN2at6native12_GLOBAL__N_116_elemwise_kernelILi256ELi4EZNS1_43_compute_linear_combination_internal_kernelIsEEvRNS_14TensorIteratorEiiiEUliE_EEviT1_,"axG",@progbits,_ZN2at6native12_GLOBAL__N_116_elemwise_kernelILi256ELi4EZNS1_43_compute_linear_combination_internal_kernelIsEEvRNS_14TensorIteratorEiiiEUliE_EEviT1_,comdat
	.globl	_ZN2at6native12_GLOBAL__N_116_elemwise_kernelILi256ELi4EZNS1_43_compute_linear_combination_internal_kernelIsEEvRNS_14TensorIteratorEiiiEUliE_EEviT1_ ; -- Begin function _ZN2at6native12_GLOBAL__N_116_elemwise_kernelILi256ELi4EZNS1_43_compute_linear_combination_internal_kernelIsEEvRNS_14TensorIteratorEiiiEUliE_EEviT1_
	.p2align	8
	.type	_ZN2at6native12_GLOBAL__N_116_elemwise_kernelILi256ELi4EZNS1_43_compute_linear_combination_internal_kernelIsEEvRNS_14TensorIteratorEiiiEUliE_EEviT1_,@function
_ZN2at6native12_GLOBAL__N_116_elemwise_kernelILi256ELi4EZNS1_43_compute_linear_combination_internal_kernelIsEEvRNS_14TensorIteratorEiiiEUliE_EEviT1_: ; @_ZN2at6native12_GLOBAL__N_116_elemwise_kernelILi256ELi4EZNS1_43_compute_linear_combination_internal_kernelIsEEvRNS_14TensorIteratorEiiiEUliE_EEviT1_
; %bb.0:
	s_clause 0x6
	s_load_b256 s[4:11], s[0:1], 0x8
	s_load_b32 s31, s[0:1], 0x0
	s_load_b128 s[16:19], s[0:1], 0x1a8
	s_load_b128 s[24:27], s[0:1], 0xcc
	s_load_b64 s[12:13], s[0:1], 0xdc
	s_load_b64 s[2:3], s[0:1], 0x1a0
	s_load_b128 s[20:23], s[0:1], 0x190
	s_or_b32 s0, s0, 8
	v_lshl_or_b32 v6, s15, 10, v0
	s_waitcnt lgkmcnt(0)
	s_mov_b32 s19, -1
	s_mov_b32 s34, exec_lo
	s_add_i32 s11, s4, -1
	s_delay_alu instid0(SALU_CYCLE_1)
	s_cmp_gt_u32 s11, 1
	s_cselect_b32 s14, -1, 0
	s_cmp_lg_u32 s4, 0
	v_cndmask_b32_e64 v7, 0, 1, s14
	s_cselect_b32 s33, -1, 0
	s_min_u32 s30, s11, 15
	s_cmp_gt_u32 s4, 1
	s_cselect_b32 s11, -1, 0
	s_cmp_gt_i32 s16, 0
	s_cselect_b32 s4, -1, 0
	v_cmpx_gt_i32_e64 s31, v6
	s_cbranch_execnz .LBB4_4
; %bb.1:
	s_or_b32 exec_lo, exec_lo, s34
	s_delay_alu instid0(SALU_CYCLE_1)
	s_mov_b32 s34, exec_lo
	v_cmpx_gt_i32_e64 s31, v6
	s_cbranch_execnz .LBB4_18
.LBB4_2:
	s_or_b32 exec_lo, exec_lo, s34
	s_delay_alu instid0(SALU_CYCLE_1)
	s_mov_b32 s34, exec_lo
	v_cmpx_gt_i32_e64 s31, v6
	s_cbranch_execnz .LBB4_32
.LBB4_3:
	s_or_b32 exec_lo, exec_lo, s34
	s_delay_alu instid0(SALU_CYCLE_1)
	s_mov_b32 s14, exec_lo
	v_cmpx_gt_i32_e64 s31, v6
	s_cbranch_execnz .LBB4_46
	s_branch .LBB4_59
.LBB4_4:
	s_and_not1_b32 vcc_lo, exec_lo, s14
	s_cbranch_vccnz .LBB4_10
; %bb.5:
	v_dual_mov_b32 v2, 0 :: v_dual_mov_b32 v1, 0
	v_mov_b32_e32 v0, 0
	s_and_not1_b32 vcc_lo, exec_lo, s33
	s_mov_b32 s19, 0
	s_cbranch_vccnz .LBB4_11
; %bb.6:
	s_add_i32 s14, s30, 1
	v_dual_mov_b32 v0, 0 :: v_dual_mov_b32 v1, 0
	v_dual_mov_b32 v2, 0 :: v_dual_mov_b32 v3, v6
	s_and_b32 s28, s14, 30
	s_add_u32 s14, s0, 0xffffffec
	s_addc_u32 s15, s1, -1
	s_set_inst_prefetch_distance 0x1
	.p2align	6
.LBB4_7:                                ; =>This Inner Loop Header: Depth=1
	s_clause 0x2
	s_load_b128 s[36:39], s[14:15], 0x18
	s_load_b64 s[44:45], s[14:15], 0x28
	s_load_b128 s[40:43], s[14:15], 0xd8
	s_waitcnt lgkmcnt(0)
	v_mul_hi_u32 v4, s37, v3
	s_delay_alu instid0(VALU_DEP_1) | instskip(NEXT) | instid1(VALU_DEP_1)
	v_add_nc_u32_e32 v4, v3, v4
	v_lshrrev_b32_e32 v4, s38, v4
	s_delay_alu instid0(VALU_DEP_1)
	v_mul_hi_u32 v5, s44, v4
	v_mul_lo_u32 v8, v4, s36
	s_load_b64 s[36:37], s[14:15], 0xe8
	s_add_u32 s14, s14, 24
	s_addc_u32 s15, s15, 0
	s_add_i32 s28, s28, -2
	s_delay_alu instid0(SALU_CYCLE_1) | instskip(NEXT) | instid1(VALU_DEP_2)
	s_cmp_lg_u32 s28, 0
	v_add_nc_u32_e32 v5, v4, v5
	s_delay_alu instid0(VALU_DEP_2) | instskip(NEXT) | instid1(VALU_DEP_2)
	v_sub_nc_u32_e32 v8, v3, v8
	v_lshrrev_b32_e32 v3, s45, v5
	s_delay_alu instid0(VALU_DEP_2) | instskip(NEXT) | instid1(VALU_DEP_2)
	v_mul_lo_u32 v9, v8, s40
	v_mul_lo_u32 v5, v3, s39
	s_delay_alu instid0(VALU_DEP_1) | instskip(SKIP_2) | instid1(VALU_DEP_3)
	v_sub_nc_u32_e32 v4, v4, v5
	v_mul_lo_u32 v5, v8, s41
	v_mul_lo_u32 v8, v8, s42
	;; [unrolled: 1-line block ×3, first 2 shown]
	s_waitcnt lgkmcnt(0)
	v_mul_lo_u32 v11, v4, s36
	v_mul_lo_u32 v4, v4, s37
	s_delay_alu instid0(VALU_DEP_3) | instskip(NEXT) | instid1(VALU_DEP_3)
	v_add3_u32 v2, v9, v2, v10
	v_add3_u32 v1, v5, v1, v11
	s_delay_alu instid0(VALU_DEP_3)
	v_add3_u32 v0, v8, v0, v4
	s_cbranch_scc1 .LBB4_7
; %bb.8:
	s_set_inst_prefetch_distance 0x2
	s_bitcmp1_b32 s30, 0
	s_cselect_b32 s28, -1, 0
	s_delay_alu instid0(SALU_CYCLE_1)
	s_and_b32 vcc_lo, exec_lo, s28
	s_cbranch_vccnz .LBB4_11
; %bb.9:
	s_clause 0x3
	s_load_b64 s[28:29], s[14:15], 0x18
	s_load_b32 s35, s[14:15], 0x20
	s_load_b64 s[36:37], s[14:15], 0xd8
	s_load_b32 s14, s[14:15], 0xe0
	s_waitcnt lgkmcnt(0)
	v_mul_hi_u32 v4, s29, v3
	s_delay_alu instid0(VALU_DEP_1) | instskip(NEXT) | instid1(VALU_DEP_1)
	v_add_nc_u32_e32 v4, v3, v4
	v_lshrrev_b32_e32 v4, s35, v4
	s_delay_alu instid0(VALU_DEP_1) | instskip(NEXT) | instid1(VALU_DEP_1)
	v_mul_lo_u32 v4, v4, s28
	v_sub_nc_u32_e32 v10, v3, v4
	s_delay_alu instid0(VALU_DEP_1) | instskip(SKIP_2) | instid1(VALU_DEP_2)
	v_mad_u64_u32 v[3:4], null, v10, s36, v[2:3]
	v_mad_u64_u32 v[4:5], null, v10, s37, v[1:2]
	;; [unrolled: 1-line block ×3, first 2 shown]
	v_dual_mov_b32 v2, v3 :: v_dual_mov_b32 v1, v4
	s_delay_alu instid0(VALU_DEP_2)
	v_mov_b32_e32 v0, v8
	s_branch .LBB4_11
.LBB4_10:
                                        ; implicit-def: $vgpr2
                                        ; implicit-def: $vgpr1
                                        ; implicit-def: $vgpr0
.LBB4_11:
	s_and_not1_b32 vcc_lo, exec_lo, s19
	s_cbranch_vccnz .LBB4_14
; %bb.12:
	v_mul_hi_u32 v0, s6, v6
	s_and_not1_b32 vcc_lo, exec_lo, s11
	s_delay_alu instid0(VALU_DEP_1) | instskip(NEXT) | instid1(VALU_DEP_1)
	v_add_nc_u32_e32 v0, v6, v0
	v_lshrrev_b32_e32 v3, s7, v0
	s_delay_alu instid0(VALU_DEP_1) | instskip(NEXT) | instid1(VALU_DEP_1)
	v_mul_lo_u32 v0, v3, s5
	v_sub_nc_u32_e32 v0, v6, v0
	s_delay_alu instid0(VALU_DEP_1)
	v_mul_lo_u32 v2, v0, s24
	v_mul_lo_u32 v1, v0, s25
	;; [unrolled: 1-line block ×3, first 2 shown]
	s_cbranch_vccnz .LBB4_14
; %bb.13:
	v_mul_hi_u32 v4, s9, v3
	s_delay_alu instid0(VALU_DEP_1) | instskip(NEXT) | instid1(VALU_DEP_1)
	v_add_nc_u32_e32 v4, v3, v4
	v_lshrrev_b32_e32 v4, s10, v4
	s_delay_alu instid0(VALU_DEP_1) | instskip(NEXT) | instid1(VALU_DEP_1)
	v_mul_lo_u32 v4, v4, s8
	v_sub_nc_u32_e32 v10, v3, v4
	s_delay_alu instid0(VALU_DEP_1) | instskip(SKIP_2) | instid1(VALU_DEP_2)
	v_mad_u64_u32 v[3:4], null, v10, s27, v[2:3]
	v_mad_u64_u32 v[4:5], null, v10, s12, v[1:2]
	v_mad_u64_u32 v[8:9], null, v10, s13, v[0:1]
	v_dual_mov_b32 v2, v3 :: v_dual_mov_b32 v1, v4
	s_delay_alu instid0(VALU_DEP_2)
	v_mov_b32_e32 v0, v8
.LBB4_14:
	s_and_not1_b32 vcc_lo, exec_lo, s4
	s_cbranch_vccnz .LBB4_17
; %bb.15:
	global_load_u16 v8, v2, s[20:21]
	v_add_co_u32 v2, s14, s20, v2
	s_delay_alu instid0(VALU_DEP_1) | instskip(SKIP_1) | instid1(VALU_DEP_1)
	v_add_co_ci_u32_e64 v3, null, s21, 0, s14
	v_add_co_u32 v4, s14, s22, v1
	v_add_co_ci_u32_e64 v5, null, s23, 0, s14
	v_add_co_u32 v0, s14, s2, v0
	s_delay_alu instid0(VALU_DEP_1)
	v_add_co_ci_u32_e64 v1, null, s3, 0, s14
	s_ashr_i32 s19, s18, 31
	s_ashr_i32 s29, s17, 31
	s_mov_b32 s28, s17
	s_lshl_b64 s[14:15], s[18:19], 1
	s_lshl_b64 s[28:29], s[28:29], 1
	s_mov_b32 s19, s16
	.p2align	6
.LBB4_16:                               ; =>This Inner Loop Header: Depth=1
	global_load_u16 v9, v[4:5], off
	global_load_u16 v10, v[0:1], off
	v_add_co_u32 v0, vcc_lo, v0, s14
	v_add_co_ci_u32_e32 v1, vcc_lo, s15, v1, vcc_lo
	v_add_co_u32 v4, vcc_lo, v4, s28
	v_add_co_ci_u32_e32 v5, vcc_lo, s29, v5, vcc_lo
	s_add_i32 s19, s19, -1
	s_delay_alu instid0(SALU_CYCLE_1)
	s_cmp_lg_u32 s19, 0
	s_waitcnt vmcnt(0)
	v_mad_u16 v8, v10, v9, v8
	global_store_b16 v[2:3], v8, off
	s_cbranch_scc1 .LBB4_16
.LBB4_17:
	v_add_nc_u32_e32 v6, 0x100, v6
	s_or_b32 exec_lo, exec_lo, s34
	s_delay_alu instid0(SALU_CYCLE_1) | instskip(NEXT) | instid1(VALU_DEP_1)
	s_mov_b32 s34, exec_lo
	v_cmpx_gt_i32_e64 s31, v6
	s_cbranch_execz .LBB4_2
.LBB4_18:
	v_cmp_ne_u32_e32 vcc_lo, 1, v7
	s_cbranch_vccnz .LBB4_24
; %bb.19:
	v_dual_mov_b32 v2, 0 :: v_dual_mov_b32 v1, 0
	v_mov_b32_e32 v0, 0
	s_and_not1_b32 vcc_lo, exec_lo, s33
	s_mov_b32 s19, 0
	s_cbranch_vccnz .LBB4_25
; %bb.20:
	s_add_i32 s14, s30, 1
	v_dual_mov_b32 v0, 0 :: v_dual_mov_b32 v1, 0
	v_dual_mov_b32 v2, 0 :: v_dual_mov_b32 v3, v6
	s_and_b32 s28, s14, 30
	s_add_u32 s14, s0, 0xffffffec
	s_addc_u32 s15, s1, -1
	s_set_inst_prefetch_distance 0x1
	.p2align	6
.LBB4_21:                               ; =>This Inner Loop Header: Depth=1
	s_clause 0x2
	s_load_b128 s[36:39], s[14:15], 0x18
	s_load_b64 s[44:45], s[14:15], 0x28
	s_load_b128 s[40:43], s[14:15], 0xd8
	s_waitcnt lgkmcnt(0)
	v_mul_hi_u32 v4, s37, v3
	s_delay_alu instid0(VALU_DEP_1) | instskip(NEXT) | instid1(VALU_DEP_1)
	v_add_nc_u32_e32 v4, v3, v4
	v_lshrrev_b32_e32 v4, s38, v4
	s_delay_alu instid0(VALU_DEP_1)
	v_mul_hi_u32 v5, s44, v4
	v_mul_lo_u32 v8, v4, s36
	s_load_b64 s[36:37], s[14:15], 0xe8
	s_add_u32 s14, s14, 24
	s_addc_u32 s15, s15, 0
	s_add_i32 s28, s28, -2
	s_delay_alu instid0(SALU_CYCLE_1) | instskip(NEXT) | instid1(VALU_DEP_2)
	s_cmp_eq_u32 s28, 0
	v_add_nc_u32_e32 v5, v4, v5
	s_delay_alu instid0(VALU_DEP_2) | instskip(NEXT) | instid1(VALU_DEP_2)
	v_sub_nc_u32_e32 v8, v3, v8
	v_lshrrev_b32_e32 v3, s45, v5
	s_delay_alu instid0(VALU_DEP_2) | instskip(NEXT) | instid1(VALU_DEP_2)
	v_mul_lo_u32 v9, v8, s40
	v_mul_lo_u32 v5, v3, s39
	s_delay_alu instid0(VALU_DEP_1) | instskip(SKIP_2) | instid1(VALU_DEP_3)
	v_sub_nc_u32_e32 v4, v4, v5
	v_mul_lo_u32 v5, v8, s41
	v_mul_lo_u32 v8, v8, s42
	v_mul_lo_u32 v10, v4, s43
	s_waitcnt lgkmcnt(0)
	v_mul_lo_u32 v11, v4, s36
	v_mul_lo_u32 v4, v4, s37
	s_delay_alu instid0(VALU_DEP_3) | instskip(NEXT) | instid1(VALU_DEP_3)
	v_add3_u32 v2, v9, v2, v10
	v_add3_u32 v1, v5, v1, v11
	s_delay_alu instid0(VALU_DEP_3)
	v_add3_u32 v0, v8, v0, v4
	s_cbranch_scc0 .LBB4_21
; %bb.22:
	s_set_inst_prefetch_distance 0x2
	s_bitcmp1_b32 s30, 0
	s_cselect_b32 s28, -1, 0
	s_delay_alu instid0(SALU_CYCLE_1)
	s_and_b32 vcc_lo, exec_lo, s28
	s_cbranch_vccnz .LBB4_25
; %bb.23:
	s_clause 0x3
	s_load_b64 s[28:29], s[14:15], 0x18
	s_load_b32 s35, s[14:15], 0x20
	s_load_b64 s[36:37], s[14:15], 0xd8
	s_load_b32 s14, s[14:15], 0xe0
	s_waitcnt lgkmcnt(0)
	v_mul_hi_u32 v4, s29, v3
	s_delay_alu instid0(VALU_DEP_1) | instskip(NEXT) | instid1(VALU_DEP_1)
	v_add_nc_u32_e32 v4, v3, v4
	v_lshrrev_b32_e32 v4, s35, v4
	s_delay_alu instid0(VALU_DEP_1) | instskip(NEXT) | instid1(VALU_DEP_1)
	v_mul_lo_u32 v4, v4, s28
	v_sub_nc_u32_e32 v10, v3, v4
	s_delay_alu instid0(VALU_DEP_1) | instskip(SKIP_2) | instid1(VALU_DEP_2)
	v_mad_u64_u32 v[3:4], null, v10, s36, v[2:3]
	v_mad_u64_u32 v[4:5], null, v10, s37, v[1:2]
	;; [unrolled: 1-line block ×3, first 2 shown]
	v_dual_mov_b32 v2, v3 :: v_dual_mov_b32 v1, v4
	s_delay_alu instid0(VALU_DEP_2)
	v_mov_b32_e32 v0, v8
	s_branch .LBB4_25
.LBB4_24:
	s_mov_b32 s19, -1
                                        ; implicit-def: $vgpr2
                                        ; implicit-def: $vgpr1
                                        ; implicit-def: $vgpr0
.LBB4_25:
	s_delay_alu instid0(SALU_CYCLE_1)
	s_and_not1_b32 vcc_lo, exec_lo, s19
	s_cbranch_vccnz .LBB4_28
; %bb.26:
	v_mul_hi_u32 v0, s6, v6
	s_and_not1_b32 vcc_lo, exec_lo, s11
	s_delay_alu instid0(VALU_DEP_1) | instskip(NEXT) | instid1(VALU_DEP_1)
	v_add_nc_u32_e32 v0, v6, v0
	v_lshrrev_b32_e32 v3, s7, v0
	s_delay_alu instid0(VALU_DEP_1) | instskip(NEXT) | instid1(VALU_DEP_1)
	v_mul_lo_u32 v0, v3, s5
	v_sub_nc_u32_e32 v0, v6, v0
	s_delay_alu instid0(VALU_DEP_1)
	v_mul_lo_u32 v2, v0, s24
	v_mul_lo_u32 v1, v0, s25
	;; [unrolled: 1-line block ×3, first 2 shown]
	s_cbranch_vccnz .LBB4_28
; %bb.27:
	v_mul_hi_u32 v4, s9, v3
	s_delay_alu instid0(VALU_DEP_1) | instskip(NEXT) | instid1(VALU_DEP_1)
	v_add_nc_u32_e32 v4, v3, v4
	v_lshrrev_b32_e32 v4, s10, v4
	s_delay_alu instid0(VALU_DEP_1) | instskip(NEXT) | instid1(VALU_DEP_1)
	v_mul_lo_u32 v4, v4, s8
	v_sub_nc_u32_e32 v10, v3, v4
	s_delay_alu instid0(VALU_DEP_1) | instskip(SKIP_2) | instid1(VALU_DEP_2)
	v_mad_u64_u32 v[3:4], null, v10, s27, v[2:3]
	v_mad_u64_u32 v[4:5], null, v10, s12, v[1:2]
	;; [unrolled: 1-line block ×3, first 2 shown]
	v_dual_mov_b32 v2, v3 :: v_dual_mov_b32 v1, v4
	s_delay_alu instid0(VALU_DEP_2)
	v_mov_b32_e32 v0, v8
.LBB4_28:
	s_and_not1_b32 vcc_lo, exec_lo, s4
	s_cbranch_vccnz .LBB4_31
; %bb.29:
	global_load_u16 v8, v2, s[20:21]
	v_add_co_u32 v2, s14, s20, v2
	s_delay_alu instid0(VALU_DEP_1) | instskip(SKIP_1) | instid1(VALU_DEP_1)
	v_add_co_ci_u32_e64 v3, null, s21, 0, s14
	v_add_co_u32 v4, s14, s22, v1
	v_add_co_ci_u32_e64 v5, null, s23, 0, s14
	v_add_co_u32 v0, s14, s2, v0
	s_delay_alu instid0(VALU_DEP_1)
	v_add_co_ci_u32_e64 v1, null, s3, 0, s14
	s_ashr_i32 s19, s18, 31
	s_ashr_i32 s29, s17, 31
	s_mov_b32 s28, s17
	s_lshl_b64 s[14:15], s[18:19], 1
	s_lshl_b64 s[28:29], s[28:29], 1
	s_mov_b32 s19, s16
	.p2align	6
.LBB4_30:                               ; =>This Inner Loop Header: Depth=1
	global_load_u16 v9, v[4:5], off
	global_load_u16 v10, v[0:1], off
	v_add_co_u32 v0, vcc_lo, v0, s14
	v_add_co_ci_u32_e32 v1, vcc_lo, s15, v1, vcc_lo
	v_add_co_u32 v4, vcc_lo, v4, s28
	v_add_co_ci_u32_e32 v5, vcc_lo, s29, v5, vcc_lo
	s_add_i32 s19, s19, -1
	s_delay_alu instid0(SALU_CYCLE_1)
	s_cmp_lg_u32 s19, 0
	s_waitcnt vmcnt(0)
	v_mad_u16 v8, v10, v9, v8
	global_store_b16 v[2:3], v8, off
	s_cbranch_scc1 .LBB4_30
.LBB4_31:
	v_add_nc_u32_e32 v6, 0x100, v6
	s_or_b32 exec_lo, exec_lo, s34
	s_delay_alu instid0(SALU_CYCLE_1) | instskip(NEXT) | instid1(VALU_DEP_1)
	s_mov_b32 s34, exec_lo
	v_cmpx_gt_i32_e64 s31, v6
	s_cbranch_execz .LBB4_3
.LBB4_32:
	v_cmp_ne_u32_e32 vcc_lo, 1, v7
	s_cbranch_vccnz .LBB4_38
; %bb.33:
	v_dual_mov_b32 v2, 0 :: v_dual_mov_b32 v1, 0
	v_mov_b32_e32 v0, 0
	s_and_not1_b32 vcc_lo, exec_lo, s33
	s_mov_b32 s19, 0
	s_cbranch_vccnz .LBB4_39
; %bb.34:
	s_add_i32 s14, s30, 1
	v_dual_mov_b32 v0, 0 :: v_dual_mov_b32 v1, 0
	v_dual_mov_b32 v2, 0 :: v_dual_mov_b32 v3, v6
	s_and_b32 s28, s14, 30
	s_add_u32 s14, s0, 0xffffffec
	s_addc_u32 s15, s1, -1
	s_set_inst_prefetch_distance 0x1
	.p2align	6
.LBB4_35:                               ; =>This Inner Loop Header: Depth=1
	s_clause 0x2
	s_load_b128 s[36:39], s[14:15], 0x18
	s_load_b64 s[44:45], s[14:15], 0x28
	s_load_b128 s[40:43], s[14:15], 0xd8
	s_waitcnt lgkmcnt(0)
	v_mul_hi_u32 v4, s37, v3
	s_delay_alu instid0(VALU_DEP_1) | instskip(NEXT) | instid1(VALU_DEP_1)
	v_add_nc_u32_e32 v4, v3, v4
	v_lshrrev_b32_e32 v4, s38, v4
	s_delay_alu instid0(VALU_DEP_1)
	v_mul_hi_u32 v5, s44, v4
	v_mul_lo_u32 v8, v4, s36
	s_load_b64 s[36:37], s[14:15], 0xe8
	s_add_u32 s14, s14, 24
	s_addc_u32 s15, s15, 0
	s_add_i32 s28, s28, -2
	s_delay_alu instid0(SALU_CYCLE_1) | instskip(NEXT) | instid1(VALU_DEP_2)
	s_cmp_eq_u32 s28, 0
	v_add_nc_u32_e32 v5, v4, v5
	s_delay_alu instid0(VALU_DEP_2) | instskip(NEXT) | instid1(VALU_DEP_2)
	v_sub_nc_u32_e32 v8, v3, v8
	v_lshrrev_b32_e32 v3, s45, v5
	s_delay_alu instid0(VALU_DEP_2) | instskip(NEXT) | instid1(VALU_DEP_2)
	v_mul_lo_u32 v9, v8, s40
	v_mul_lo_u32 v5, v3, s39
	s_delay_alu instid0(VALU_DEP_1) | instskip(SKIP_2) | instid1(VALU_DEP_3)
	v_sub_nc_u32_e32 v4, v4, v5
	v_mul_lo_u32 v5, v8, s41
	v_mul_lo_u32 v8, v8, s42
	;; [unrolled: 1-line block ×3, first 2 shown]
	s_waitcnt lgkmcnt(0)
	v_mul_lo_u32 v11, v4, s36
	v_mul_lo_u32 v4, v4, s37
	s_delay_alu instid0(VALU_DEP_3) | instskip(NEXT) | instid1(VALU_DEP_3)
	v_add3_u32 v2, v9, v2, v10
	v_add3_u32 v1, v5, v1, v11
	s_delay_alu instid0(VALU_DEP_3)
	v_add3_u32 v0, v8, v0, v4
	s_cbranch_scc0 .LBB4_35
; %bb.36:
	s_set_inst_prefetch_distance 0x2
	s_bitcmp1_b32 s30, 0
	s_cselect_b32 s28, -1, 0
	s_delay_alu instid0(SALU_CYCLE_1)
	s_and_b32 vcc_lo, exec_lo, s28
	s_cbranch_vccnz .LBB4_39
; %bb.37:
	s_clause 0x3
	s_load_b64 s[28:29], s[14:15], 0x18
	s_load_b32 s35, s[14:15], 0x20
	s_load_b64 s[36:37], s[14:15], 0xd8
	s_load_b32 s14, s[14:15], 0xe0
	s_waitcnt lgkmcnt(0)
	v_mul_hi_u32 v4, s29, v3
	s_delay_alu instid0(VALU_DEP_1) | instskip(NEXT) | instid1(VALU_DEP_1)
	v_add_nc_u32_e32 v4, v3, v4
	v_lshrrev_b32_e32 v4, s35, v4
	s_delay_alu instid0(VALU_DEP_1) | instskip(NEXT) | instid1(VALU_DEP_1)
	v_mul_lo_u32 v4, v4, s28
	v_sub_nc_u32_e32 v10, v3, v4
	s_delay_alu instid0(VALU_DEP_1) | instskip(SKIP_2) | instid1(VALU_DEP_2)
	v_mad_u64_u32 v[3:4], null, v10, s36, v[2:3]
	v_mad_u64_u32 v[4:5], null, v10, s37, v[1:2]
	;; [unrolled: 1-line block ×3, first 2 shown]
	v_dual_mov_b32 v2, v3 :: v_dual_mov_b32 v1, v4
	s_delay_alu instid0(VALU_DEP_2)
	v_mov_b32_e32 v0, v8
	s_branch .LBB4_39
.LBB4_38:
	s_mov_b32 s19, -1
                                        ; implicit-def: $vgpr2
                                        ; implicit-def: $vgpr1
                                        ; implicit-def: $vgpr0
.LBB4_39:
	s_delay_alu instid0(SALU_CYCLE_1)
	s_and_not1_b32 vcc_lo, exec_lo, s19
	s_cbranch_vccnz .LBB4_42
; %bb.40:
	v_mul_hi_u32 v0, s6, v6
	s_and_not1_b32 vcc_lo, exec_lo, s11
	s_delay_alu instid0(VALU_DEP_1) | instskip(NEXT) | instid1(VALU_DEP_1)
	v_add_nc_u32_e32 v0, v6, v0
	v_lshrrev_b32_e32 v3, s7, v0
	s_delay_alu instid0(VALU_DEP_1) | instskip(NEXT) | instid1(VALU_DEP_1)
	v_mul_lo_u32 v0, v3, s5
	v_sub_nc_u32_e32 v0, v6, v0
	s_delay_alu instid0(VALU_DEP_1)
	v_mul_lo_u32 v2, v0, s24
	v_mul_lo_u32 v1, v0, s25
	;; [unrolled: 1-line block ×3, first 2 shown]
	s_cbranch_vccnz .LBB4_42
; %bb.41:
	v_mul_hi_u32 v4, s9, v3
	s_delay_alu instid0(VALU_DEP_1) | instskip(NEXT) | instid1(VALU_DEP_1)
	v_add_nc_u32_e32 v4, v3, v4
	v_lshrrev_b32_e32 v4, s10, v4
	s_delay_alu instid0(VALU_DEP_1) | instskip(NEXT) | instid1(VALU_DEP_1)
	v_mul_lo_u32 v4, v4, s8
	v_sub_nc_u32_e32 v10, v3, v4
	s_delay_alu instid0(VALU_DEP_1) | instskip(SKIP_2) | instid1(VALU_DEP_2)
	v_mad_u64_u32 v[3:4], null, v10, s27, v[2:3]
	v_mad_u64_u32 v[4:5], null, v10, s12, v[1:2]
	v_mad_u64_u32 v[8:9], null, v10, s13, v[0:1]
	v_dual_mov_b32 v2, v3 :: v_dual_mov_b32 v1, v4
	s_delay_alu instid0(VALU_DEP_2)
	v_mov_b32_e32 v0, v8
.LBB4_42:
	s_and_not1_b32 vcc_lo, exec_lo, s4
	s_cbranch_vccnz .LBB4_45
; %bb.43:
	global_load_u16 v8, v2, s[20:21]
	v_add_co_u32 v2, s14, s20, v2
	s_delay_alu instid0(VALU_DEP_1) | instskip(SKIP_1) | instid1(VALU_DEP_1)
	v_add_co_ci_u32_e64 v3, null, s21, 0, s14
	v_add_co_u32 v4, s14, s22, v1
	v_add_co_ci_u32_e64 v5, null, s23, 0, s14
	v_add_co_u32 v0, s14, s2, v0
	s_delay_alu instid0(VALU_DEP_1)
	v_add_co_ci_u32_e64 v1, null, s3, 0, s14
	s_ashr_i32 s19, s18, 31
	s_ashr_i32 s29, s17, 31
	s_mov_b32 s28, s17
	s_lshl_b64 s[14:15], s[18:19], 1
	s_lshl_b64 s[28:29], s[28:29], 1
	s_mov_b32 s19, s16
	.p2align	6
.LBB4_44:                               ; =>This Inner Loop Header: Depth=1
	global_load_u16 v9, v[4:5], off
	global_load_u16 v10, v[0:1], off
	v_add_co_u32 v0, vcc_lo, v0, s14
	v_add_co_ci_u32_e32 v1, vcc_lo, s15, v1, vcc_lo
	v_add_co_u32 v4, vcc_lo, v4, s28
	v_add_co_ci_u32_e32 v5, vcc_lo, s29, v5, vcc_lo
	s_add_i32 s19, s19, -1
	s_delay_alu instid0(SALU_CYCLE_1)
	s_cmp_lg_u32 s19, 0
	s_waitcnt vmcnt(0)
	v_mad_u16 v8, v10, v9, v8
	global_store_b16 v[2:3], v8, off
	s_cbranch_scc1 .LBB4_44
.LBB4_45:
	v_add_nc_u32_e32 v6, 0x100, v6
	s_or_b32 exec_lo, exec_lo, s34
	s_delay_alu instid0(SALU_CYCLE_1) | instskip(NEXT) | instid1(VALU_DEP_1)
	s_mov_b32 s14, exec_lo
	v_cmpx_gt_i32_e64 s31, v6
	s_cbranch_execz .LBB4_59
.LBB4_46:
	v_cmp_ne_u32_e32 vcc_lo, 1, v7
	s_cbranch_vccnz .LBB4_52
; %bb.47:
	v_dual_mov_b32 v2, 0 :: v_dual_mov_b32 v1, 0
	v_mov_b32_e32 v0, 0
	s_and_not1_b32 vcc_lo, exec_lo, s33
	s_mov_b32 s14, 0
	s_cbranch_vccnz .LBB4_53
; %bb.48:
	s_add_i32 s15, s30, 1
	v_dual_mov_b32 v0, 0 :: v_dual_mov_b32 v1, 0
	v_dual_mov_b32 v2, 0 :: v_dual_mov_b32 v3, v6
	s_and_b32 s15, s15, 30
	s_add_u32 s0, s0, 0xffffffec
	s_addc_u32 s1, s1, -1
	s_set_inst_prefetch_distance 0x1
	.p2align	6
.LBB4_49:                               ; =>This Inner Loop Header: Depth=1
	s_clause 0x3
	s_load_b128 s[36:39], s[0:1], 0x18
	s_load_b64 s[28:29], s[0:1], 0x28
	s_load_b128 s[40:43], s[0:1], 0xd8
	s_load_b64 s[34:35], s[0:1], 0xe8
	s_add_u32 s0, s0, 24
	s_addc_u32 s1, s1, 0
	s_add_i32 s15, s15, -2
	s_delay_alu instid0(SALU_CYCLE_1) | instskip(SKIP_2) | instid1(VALU_DEP_1)
	s_cmp_eq_u32 s15, 0
	s_waitcnt lgkmcnt(0)
	v_mul_hi_u32 v4, s37, v3
	v_add_nc_u32_e32 v4, v3, v4
	s_delay_alu instid0(VALU_DEP_1) | instskip(NEXT) | instid1(VALU_DEP_1)
	v_lshrrev_b32_e32 v4, s38, v4
	v_mul_hi_u32 v5, s28, v4
	v_mul_lo_u32 v7, v4, s36
	s_delay_alu instid0(VALU_DEP_2) | instskip(NEXT) | instid1(VALU_DEP_2)
	v_add_nc_u32_e32 v5, v4, v5
	v_sub_nc_u32_e32 v7, v3, v7
	s_delay_alu instid0(VALU_DEP_2) | instskip(NEXT) | instid1(VALU_DEP_2)
	v_lshrrev_b32_e32 v3, s29, v5
	v_mul_lo_u32 v8, v7, s40
	s_delay_alu instid0(VALU_DEP_2) | instskip(NEXT) | instid1(VALU_DEP_1)
	v_mul_lo_u32 v5, v3, s39
	v_sub_nc_u32_e32 v4, v4, v5
	v_mul_lo_u32 v5, v7, s41
	v_mul_lo_u32 v7, v7, s42
	s_delay_alu instid0(VALU_DEP_3) | instskip(SKIP_2) | instid1(VALU_DEP_3)
	v_mul_lo_u32 v9, v4, s43
	v_mul_lo_u32 v10, v4, s34
	v_mul_lo_u32 v4, v4, s35
	v_add3_u32 v2, v8, v2, v9
	s_delay_alu instid0(VALU_DEP_3) | instskip(NEXT) | instid1(VALU_DEP_3)
	v_add3_u32 v1, v5, v1, v10
	v_add3_u32 v0, v7, v0, v4
	s_cbranch_scc0 .LBB4_49
; %bb.50:
	s_set_inst_prefetch_distance 0x2
	s_bitcmp1_b32 s30, 0
	s_cselect_b32 s15, -1, 0
	s_delay_alu instid0(SALU_CYCLE_1)
	s_and_b32 vcc_lo, exec_lo, s15
	s_cbranch_vccnz .LBB4_53
; %bb.51:
	s_clause 0x3
	s_load_b64 s[28:29], s[0:1], 0x18
	s_load_b32 s15, s[0:1], 0x20
	s_load_b64 s[30:31], s[0:1], 0xd8
	s_load_b32 s0, s[0:1], 0xe0
	s_waitcnt lgkmcnt(0)
	v_mul_hi_u32 v4, s29, v3
	s_delay_alu instid0(VALU_DEP_1) | instskip(NEXT) | instid1(VALU_DEP_1)
	v_add_nc_u32_e32 v4, v3, v4
	v_lshrrev_b32_e32 v4, s15, v4
	s_delay_alu instid0(VALU_DEP_1) | instskip(NEXT) | instid1(VALU_DEP_1)
	v_mul_lo_u32 v4, v4, s28
	v_sub_nc_u32_e32 v9, v3, v4
	s_delay_alu instid0(VALU_DEP_1) | instskip(SKIP_2) | instid1(VALU_DEP_2)
	v_mad_u64_u32 v[3:4], null, v9, s30, v[2:3]
	v_mad_u64_u32 v[4:5], null, v9, s31, v[1:2]
	;; [unrolled: 1-line block ×3, first 2 shown]
	v_dual_mov_b32 v2, v3 :: v_dual_mov_b32 v1, v4
	s_delay_alu instid0(VALU_DEP_2)
	v_mov_b32_e32 v0, v7
	s_branch .LBB4_53
.LBB4_52:
	s_mov_b32 s14, -1
                                        ; implicit-def: $vgpr2
                                        ; implicit-def: $vgpr1
                                        ; implicit-def: $vgpr0
.LBB4_53:
	s_delay_alu instid0(SALU_CYCLE_1)
	s_and_not1_b32 vcc_lo, exec_lo, s14
	s_cbranch_vccnz .LBB4_56
; %bb.54:
	v_mul_hi_u32 v0, s6, v6
	s_and_not1_b32 vcc_lo, exec_lo, s11
	s_delay_alu instid0(VALU_DEP_1) | instskip(NEXT) | instid1(VALU_DEP_1)
	v_add_nc_u32_e32 v0, v6, v0
	v_lshrrev_b32_e32 v3, s7, v0
	s_delay_alu instid0(VALU_DEP_1) | instskip(NEXT) | instid1(VALU_DEP_1)
	v_mul_lo_u32 v0, v3, s5
	v_sub_nc_u32_e32 v0, v6, v0
	s_delay_alu instid0(VALU_DEP_1)
	v_mul_lo_u32 v2, v0, s24
	v_mul_lo_u32 v1, v0, s25
	v_mul_lo_u32 v0, v0, s26
	s_cbranch_vccnz .LBB4_56
; %bb.55:
	v_mul_hi_u32 v4, s9, v3
	s_delay_alu instid0(VALU_DEP_1) | instskip(NEXT) | instid1(VALU_DEP_1)
	v_add_nc_u32_e32 v4, v3, v4
	v_lshrrev_b32_e32 v4, s10, v4
	s_delay_alu instid0(VALU_DEP_1) | instskip(NEXT) | instid1(VALU_DEP_1)
	v_mul_lo_u32 v4, v4, s8
	v_sub_nc_u32_e32 v7, v3, v4
	s_delay_alu instid0(VALU_DEP_1) | instskip(SKIP_2) | instid1(VALU_DEP_2)
	v_mad_u64_u32 v[3:4], null, v7, s27, v[2:3]
	v_mad_u64_u32 v[4:5], null, v7, s12, v[1:2]
	;; [unrolled: 1-line block ×3, first 2 shown]
	v_dual_mov_b32 v2, v3 :: v_dual_mov_b32 v1, v4
	s_delay_alu instid0(VALU_DEP_2)
	v_mov_b32_e32 v0, v5
.LBB4_56:
	s_and_not1_b32 vcc_lo, exec_lo, s4
	s_cbranch_vccnz .LBB4_59
; %bb.57:
	global_load_u16 v6, v2, s[20:21]
	v_add_co_u32 v2, s0, s20, v2
	s_delay_alu instid0(VALU_DEP_1) | instskip(SKIP_1) | instid1(VALU_DEP_1)
	v_add_co_ci_u32_e64 v3, null, s21, 0, s0
	v_add_co_u32 v4, s0, s22, v1
	v_add_co_ci_u32_e64 v5, null, s23, 0, s0
	v_add_co_u32 v0, s0, s2, v0
	s_delay_alu instid0(VALU_DEP_1)
	v_add_co_ci_u32_e64 v1, null, s3, 0, s0
	s_ashr_i32 s19, s18, 31
	s_ashr_i32 s3, s17, 31
	s_mov_b32 s2, s17
	s_lshl_b64 s[0:1], s[18:19], 1
	s_lshl_b64 s[2:3], s[2:3], 1
	.p2align	6
.LBB4_58:                               ; =>This Inner Loop Header: Depth=1
	global_load_u16 v7, v[4:5], off
	global_load_u16 v8, v[0:1], off
	v_add_co_u32 v0, vcc_lo, v0, s0
	v_add_co_ci_u32_e32 v1, vcc_lo, s1, v1, vcc_lo
	v_add_co_u32 v4, vcc_lo, v4, s2
	v_add_co_ci_u32_e32 v5, vcc_lo, s3, v5, vcc_lo
	s_add_i32 s16, s16, -1
	s_delay_alu instid0(SALU_CYCLE_1)
	s_cmp_lg_u32 s16, 0
	s_waitcnt vmcnt(0)
	v_mad_u16 v6, v8, v7, v6
	global_store_b16 v[2:3], v6, off
	s_cbranch_scc1 .LBB4_58
.LBB4_59:
	s_nop 0
	s_sendmsg sendmsg(MSG_DEALLOC_VGPRS)
	s_endpgm
	.section	.rodata,"a",@progbits
	.p2align	6, 0x0
	.amdhsa_kernel _ZN2at6native12_GLOBAL__N_116_elemwise_kernelILi256ELi4EZNS1_43_compute_linear_combination_internal_kernelIsEEvRNS_14TensorIteratorEiiiEUliE_EEviT1_
		.amdhsa_group_segment_fixed_size 0
		.amdhsa_private_segment_fixed_size 0
		.amdhsa_kernarg_size 440
		.amdhsa_user_sgpr_count 15
		.amdhsa_user_sgpr_dispatch_ptr 0
		.amdhsa_user_sgpr_queue_ptr 0
		.amdhsa_user_sgpr_kernarg_segment_ptr 1
		.amdhsa_user_sgpr_dispatch_id 0
		.amdhsa_user_sgpr_private_segment_size 0
		.amdhsa_wavefront_size32 1
		.amdhsa_uses_dynamic_stack 0
		.amdhsa_enable_private_segment 0
		.amdhsa_system_sgpr_workgroup_id_x 1
		.amdhsa_system_sgpr_workgroup_id_y 0
		.amdhsa_system_sgpr_workgroup_id_z 0
		.amdhsa_system_sgpr_workgroup_info 0
		.amdhsa_system_vgpr_workitem_id 0
		.amdhsa_next_free_vgpr 12
		.amdhsa_next_free_sgpr 46
		.amdhsa_reserve_vcc 1
		.amdhsa_float_round_mode_32 0
		.amdhsa_float_round_mode_16_64 0
		.amdhsa_float_denorm_mode_32 3
		.amdhsa_float_denorm_mode_16_64 3
		.amdhsa_dx10_clamp 1
		.amdhsa_ieee_mode 1
		.amdhsa_fp16_overflow 0
		.amdhsa_workgroup_processor_mode 1
		.amdhsa_memory_ordered 1
		.amdhsa_forward_progress 0
		.amdhsa_shared_vgpr_count 0
		.amdhsa_exception_fp_ieee_invalid_op 0
		.amdhsa_exception_fp_denorm_src 0
		.amdhsa_exception_fp_ieee_div_zero 0
		.amdhsa_exception_fp_ieee_overflow 0
		.amdhsa_exception_fp_ieee_underflow 0
		.amdhsa_exception_fp_ieee_inexact 0
		.amdhsa_exception_int_div_zero 0
	.end_amdhsa_kernel
	.section	.text._ZN2at6native12_GLOBAL__N_116_elemwise_kernelILi256ELi4EZNS1_43_compute_linear_combination_internal_kernelIsEEvRNS_14TensorIteratorEiiiEUliE_EEviT1_,"axG",@progbits,_ZN2at6native12_GLOBAL__N_116_elemwise_kernelILi256ELi4EZNS1_43_compute_linear_combination_internal_kernelIsEEvRNS_14TensorIteratorEiiiEUliE_EEviT1_,comdat
.Lfunc_end4:
	.size	_ZN2at6native12_GLOBAL__N_116_elemwise_kernelILi256ELi4EZNS1_43_compute_linear_combination_internal_kernelIsEEvRNS_14TensorIteratorEiiiEUliE_EEviT1_, .Lfunc_end4-_ZN2at6native12_GLOBAL__N_116_elemwise_kernelILi256ELi4EZNS1_43_compute_linear_combination_internal_kernelIsEEvRNS_14TensorIteratorEiiiEUliE_EEviT1_
                                        ; -- End function
	.section	.AMDGPU.csdata,"",@progbits
; Kernel info:
; codeLenInByte = 3448
; NumSgprs: 48
; NumVgprs: 12
; ScratchSize: 0
; MemoryBound: 0
; FloatMode: 240
; IeeeMode: 1
; LDSByteSize: 0 bytes/workgroup (compile time only)
; SGPRBlocks: 5
; VGPRBlocks: 1
; NumSGPRsForWavesPerEU: 48
; NumVGPRsForWavesPerEU: 12
; Occupancy: 16
; WaveLimiterHint : 1
; COMPUTE_PGM_RSRC2:SCRATCH_EN: 0
; COMPUTE_PGM_RSRC2:USER_SGPR: 15
; COMPUTE_PGM_RSRC2:TRAP_HANDLER: 0
; COMPUTE_PGM_RSRC2:TGID_X_EN: 1
; COMPUTE_PGM_RSRC2:TGID_Y_EN: 0
; COMPUTE_PGM_RSRC2:TGID_Z_EN: 0
; COMPUTE_PGM_RSRC2:TIDIG_COMP_CNT: 0
	.section	.text._ZN2at6native12_GLOBAL__N_116_elemwise_kernelILi256ELi4EZNS1_43_compute_linear_combination_internal_kernelIdEEvRNS_14TensorIteratorEiiiEUliE_EEviT1_,"axG",@progbits,_ZN2at6native12_GLOBAL__N_116_elemwise_kernelILi256ELi4EZNS1_43_compute_linear_combination_internal_kernelIdEEvRNS_14TensorIteratorEiiiEUliE_EEviT1_,comdat
	.globl	_ZN2at6native12_GLOBAL__N_116_elemwise_kernelILi256ELi4EZNS1_43_compute_linear_combination_internal_kernelIdEEvRNS_14TensorIteratorEiiiEUliE_EEviT1_ ; -- Begin function _ZN2at6native12_GLOBAL__N_116_elemwise_kernelILi256ELi4EZNS1_43_compute_linear_combination_internal_kernelIdEEvRNS_14TensorIteratorEiiiEUliE_EEviT1_
	.p2align	8
	.type	_ZN2at6native12_GLOBAL__N_116_elemwise_kernelILi256ELi4EZNS1_43_compute_linear_combination_internal_kernelIdEEvRNS_14TensorIteratorEiiiEUliE_EEviT1_,@function
_ZN2at6native12_GLOBAL__N_116_elemwise_kernelILi256ELi4EZNS1_43_compute_linear_combination_internal_kernelIdEEvRNS_14TensorIteratorEiiiEUliE_EEviT1_: ; @_ZN2at6native12_GLOBAL__N_116_elemwise_kernelILi256ELi4EZNS1_43_compute_linear_combination_internal_kernelIdEEvRNS_14TensorIteratorEiiiEUliE_EEviT1_
; %bb.0:
	s_clause 0x6
	s_load_b256 s[4:11], s[0:1], 0x8
	s_load_b32 s31, s[0:1], 0x0
	s_load_b128 s[16:19], s[0:1], 0x1a8
	s_load_b128 s[24:27], s[0:1], 0xcc
	s_load_b64 s[12:13], s[0:1], 0xdc
	s_load_b64 s[2:3], s[0:1], 0x1a0
	s_load_b128 s[20:23], s[0:1], 0x190
	s_or_b32 s0, s0, 8
	v_lshl_or_b32 v9, s15, 10, v0
	s_waitcnt lgkmcnt(0)
	s_mov_b32 s19, -1
	s_mov_b32 s34, exec_lo
	s_add_i32 s11, s4, -1
	s_delay_alu instid0(SALU_CYCLE_1)
	s_cmp_gt_u32 s11, 1
	s_cselect_b32 s14, -1, 0
	s_cmp_lg_u32 s4, 0
	v_cndmask_b32_e64 v10, 0, 1, s14
	s_cselect_b32 s33, -1, 0
	s_min_u32 s30, s11, 15
	s_cmp_gt_u32 s4, 1
	s_cselect_b32 s11, -1, 0
	s_cmp_gt_i32 s16, 0
	s_cselect_b32 s4, -1, 0
	v_cmpx_gt_i32_e64 s31, v9
	s_cbranch_execnz .LBB5_4
; %bb.1:
	s_or_b32 exec_lo, exec_lo, s34
	s_delay_alu instid0(SALU_CYCLE_1)
	s_mov_b32 s34, exec_lo
	v_cmpx_gt_i32_e64 s31, v9
	s_cbranch_execnz .LBB5_18
.LBB5_2:
	s_or_b32 exec_lo, exec_lo, s34
	s_delay_alu instid0(SALU_CYCLE_1)
	s_mov_b32 s34, exec_lo
	v_cmpx_gt_i32_e64 s31, v9
	s_cbranch_execnz .LBB5_32
.LBB5_3:
	s_or_b32 exec_lo, exec_lo, s34
	s_delay_alu instid0(SALU_CYCLE_1)
	s_mov_b32 s14, exec_lo
	v_cmpx_gt_i32_e64 s31, v9
	s_cbranch_execnz .LBB5_46
	s_branch .LBB5_59
.LBB5_4:
	s_and_not1_b32 vcc_lo, exec_lo, s14
	s_cbranch_vccnz .LBB5_10
; %bb.5:
	v_dual_mov_b32 v2, 0 :: v_dual_mov_b32 v1, 0
	v_mov_b32_e32 v0, 0
	s_and_not1_b32 vcc_lo, exec_lo, s33
	s_mov_b32 s19, 0
	s_cbranch_vccnz .LBB5_11
; %bb.6:
	s_add_i32 s14, s30, 1
	v_dual_mov_b32 v0, 0 :: v_dual_mov_b32 v1, 0
	v_dual_mov_b32 v2, 0 :: v_dual_mov_b32 v3, v9
	s_and_b32 s28, s14, 30
	s_add_u32 s14, s0, 0xffffffec
	s_addc_u32 s15, s1, -1
	s_set_inst_prefetch_distance 0x1
	.p2align	6
.LBB5_7:                                ; =>This Inner Loop Header: Depth=1
	s_clause 0x2
	s_load_b128 s[36:39], s[14:15], 0x18
	s_load_b64 s[44:45], s[14:15], 0x28
	s_load_b128 s[40:43], s[14:15], 0xd8
	s_waitcnt lgkmcnt(0)
	v_mul_hi_u32 v4, s37, v3
	s_delay_alu instid0(VALU_DEP_1) | instskip(NEXT) | instid1(VALU_DEP_1)
	v_add_nc_u32_e32 v4, v3, v4
	v_lshrrev_b32_e32 v4, s38, v4
	s_delay_alu instid0(VALU_DEP_1)
	v_mul_hi_u32 v5, s44, v4
	v_mul_lo_u32 v6, v4, s36
	s_load_b64 s[36:37], s[14:15], 0xe8
	s_add_u32 s14, s14, 24
	s_addc_u32 s15, s15, 0
	s_add_i32 s28, s28, -2
	s_delay_alu instid0(SALU_CYCLE_1) | instskip(NEXT) | instid1(VALU_DEP_2)
	s_cmp_lg_u32 s28, 0
	v_add_nc_u32_e32 v5, v4, v5
	s_delay_alu instid0(VALU_DEP_2) | instskip(NEXT) | instid1(VALU_DEP_2)
	v_sub_nc_u32_e32 v6, v3, v6
	v_lshrrev_b32_e32 v3, s45, v5
	s_delay_alu instid0(VALU_DEP_2) | instskip(NEXT) | instid1(VALU_DEP_2)
	v_mul_lo_u32 v7, v6, s40
	v_mul_lo_u32 v5, v3, s39
	s_delay_alu instid0(VALU_DEP_1) | instskip(SKIP_2) | instid1(VALU_DEP_3)
	v_sub_nc_u32_e32 v4, v4, v5
	v_mul_lo_u32 v5, v6, s41
	v_mul_lo_u32 v6, v6, s42
	;; [unrolled: 1-line block ×3, first 2 shown]
	s_waitcnt lgkmcnt(0)
	v_mul_lo_u32 v11, v4, s36
	v_mul_lo_u32 v4, v4, s37
	s_delay_alu instid0(VALU_DEP_3) | instskip(NEXT) | instid1(VALU_DEP_3)
	v_add3_u32 v2, v7, v2, v8
	v_add3_u32 v1, v5, v1, v11
	s_delay_alu instid0(VALU_DEP_3)
	v_add3_u32 v0, v6, v0, v4
	s_cbranch_scc1 .LBB5_7
; %bb.8:
	s_set_inst_prefetch_distance 0x2
	s_bitcmp1_b32 s30, 0
	s_cselect_b32 s28, -1, 0
	s_delay_alu instid0(SALU_CYCLE_1)
	s_and_b32 vcc_lo, exec_lo, s28
	s_cbranch_vccnz .LBB5_11
; %bb.9:
	s_clause 0x3
	s_load_b64 s[28:29], s[14:15], 0x18
	s_load_b32 s35, s[14:15], 0x20
	s_load_b64 s[36:37], s[14:15], 0xd8
	s_load_b32 s14, s[14:15], 0xe0
	s_waitcnt lgkmcnt(0)
	v_mul_hi_u32 v4, s29, v3
	s_delay_alu instid0(VALU_DEP_1) | instskip(NEXT) | instid1(VALU_DEP_1)
	v_add_nc_u32_e32 v4, v3, v4
	v_lshrrev_b32_e32 v4, s35, v4
	s_delay_alu instid0(VALU_DEP_1) | instskip(NEXT) | instid1(VALU_DEP_1)
	v_mul_lo_u32 v4, v4, s28
	v_sub_nc_u32_e32 v7, v3, v4
	s_delay_alu instid0(VALU_DEP_1) | instskip(SKIP_2) | instid1(VALU_DEP_2)
	v_mad_u64_u32 v[3:4], null, v7, s36, v[2:3]
	v_mad_u64_u32 v[4:5], null, v7, s37, v[1:2]
	;; [unrolled: 1-line block ×3, first 2 shown]
	v_dual_mov_b32 v2, v3 :: v_dual_mov_b32 v1, v4
	s_delay_alu instid0(VALU_DEP_2)
	v_mov_b32_e32 v0, v5
	s_branch .LBB5_11
.LBB5_10:
                                        ; implicit-def: $vgpr2
                                        ; implicit-def: $vgpr1
                                        ; implicit-def: $vgpr0
.LBB5_11:
	s_and_not1_b32 vcc_lo, exec_lo, s19
	s_cbranch_vccnz .LBB5_14
; %bb.12:
	v_mul_hi_u32 v0, s6, v9
	s_and_not1_b32 vcc_lo, exec_lo, s11
	s_delay_alu instid0(VALU_DEP_1) | instskip(NEXT) | instid1(VALU_DEP_1)
	v_add_nc_u32_e32 v0, v9, v0
	v_lshrrev_b32_e32 v3, s7, v0
	s_delay_alu instid0(VALU_DEP_1) | instskip(NEXT) | instid1(VALU_DEP_1)
	v_mul_lo_u32 v0, v3, s5
	v_sub_nc_u32_e32 v0, v9, v0
	s_delay_alu instid0(VALU_DEP_1)
	v_mul_lo_u32 v2, v0, s24
	v_mul_lo_u32 v1, v0, s25
	;; [unrolled: 1-line block ×3, first 2 shown]
	s_cbranch_vccnz .LBB5_14
; %bb.13:
	v_mul_hi_u32 v4, s9, v3
	s_delay_alu instid0(VALU_DEP_1) | instskip(NEXT) | instid1(VALU_DEP_1)
	v_add_nc_u32_e32 v4, v3, v4
	v_lshrrev_b32_e32 v4, s10, v4
	s_delay_alu instid0(VALU_DEP_1) | instskip(NEXT) | instid1(VALU_DEP_1)
	v_mul_lo_u32 v4, v4, s8
	v_sub_nc_u32_e32 v7, v3, v4
	s_delay_alu instid0(VALU_DEP_1) | instskip(SKIP_2) | instid1(VALU_DEP_2)
	v_mad_u64_u32 v[3:4], null, v7, s27, v[2:3]
	v_mad_u64_u32 v[4:5], null, v7, s12, v[1:2]
	;; [unrolled: 1-line block ×3, first 2 shown]
	v_dual_mov_b32 v2, v3 :: v_dual_mov_b32 v1, v4
	s_delay_alu instid0(VALU_DEP_2)
	v_mov_b32_e32 v0, v5
.LBB5_14:
	s_and_not1_b32 vcc_lo, exec_lo, s4
	s_cbranch_vccnz .LBB5_17
; %bb.15:
	global_load_b64 v[3:4], v2, s[20:21]
	v_add_co_u32 v5, s14, s20, v2
	s_delay_alu instid0(VALU_DEP_1) | instskip(SKIP_1) | instid1(VALU_DEP_1)
	v_add_co_ci_u32_e64 v6, null, s21, 0, s14
	v_add_co_u32 v1, s14, s22, v1
	v_add_co_ci_u32_e64 v2, null, s23, 0, s14
	v_add_co_u32 v7, s14, s2, v0
	s_delay_alu instid0(VALU_DEP_1)
	v_add_co_ci_u32_e64 v8, null, s3, 0, s14
	s_ashr_i32 s19, s18, 31
	s_ashr_i32 s29, s17, 31
	s_mov_b32 s28, s17
	s_lshl_b64 s[14:15], s[18:19], 3
	s_lshl_b64 s[28:29], s[28:29], 3
	s_mov_b32 s19, s16
	.p2align	6
.LBB5_16:                               ; =>This Inner Loop Header: Depth=1
	global_load_b64 v[11:12], v[1:2], off
	global_load_b64 v[13:14], v[7:8], off
	v_add_co_u32 v7, vcc_lo, v7, s14
	v_add_co_ci_u32_e32 v8, vcc_lo, s15, v8, vcc_lo
	v_add_co_u32 v1, vcc_lo, v1, s28
	v_add_co_ci_u32_e32 v2, vcc_lo, s29, v2, vcc_lo
	s_add_i32 s19, s19, -1
	s_delay_alu instid0(SALU_CYCLE_1)
	s_cmp_lg_u32 s19, 0
	s_waitcnt vmcnt(0)
	v_fma_f64 v[3:4], v[11:12], v[13:14], v[3:4]
	global_store_b64 v[5:6], v[3:4], off
	s_cbranch_scc1 .LBB5_16
.LBB5_17:
	v_add_nc_u32_e32 v9, 0x100, v9
	s_or_b32 exec_lo, exec_lo, s34
	s_delay_alu instid0(SALU_CYCLE_1) | instskip(NEXT) | instid1(VALU_DEP_1)
	s_mov_b32 s34, exec_lo
	v_cmpx_gt_i32_e64 s31, v9
	s_cbranch_execz .LBB5_2
.LBB5_18:
	v_cmp_ne_u32_e32 vcc_lo, 1, v10
	s_cbranch_vccnz .LBB5_24
; %bb.19:
	v_dual_mov_b32 v2, 0 :: v_dual_mov_b32 v1, 0
	v_mov_b32_e32 v0, 0
	s_and_not1_b32 vcc_lo, exec_lo, s33
	s_mov_b32 s19, 0
	s_cbranch_vccnz .LBB5_25
; %bb.20:
	s_add_i32 s14, s30, 1
	v_dual_mov_b32 v0, 0 :: v_dual_mov_b32 v1, 0
	v_dual_mov_b32 v2, 0 :: v_dual_mov_b32 v3, v9
	s_and_b32 s28, s14, 30
	s_add_u32 s14, s0, 0xffffffec
	s_addc_u32 s15, s1, -1
	s_set_inst_prefetch_distance 0x1
	.p2align	6
.LBB5_21:                               ; =>This Inner Loop Header: Depth=1
	s_clause 0x2
	s_load_b128 s[36:39], s[14:15], 0x18
	s_load_b64 s[44:45], s[14:15], 0x28
	s_load_b128 s[40:43], s[14:15], 0xd8
	s_waitcnt lgkmcnt(0)
	v_mul_hi_u32 v4, s37, v3
	s_delay_alu instid0(VALU_DEP_1) | instskip(NEXT) | instid1(VALU_DEP_1)
	v_add_nc_u32_e32 v4, v3, v4
	v_lshrrev_b32_e32 v4, s38, v4
	s_delay_alu instid0(VALU_DEP_1)
	v_mul_hi_u32 v5, s44, v4
	v_mul_lo_u32 v6, v4, s36
	s_load_b64 s[36:37], s[14:15], 0xe8
	s_add_u32 s14, s14, 24
	s_addc_u32 s15, s15, 0
	s_add_i32 s28, s28, -2
	s_delay_alu instid0(SALU_CYCLE_1) | instskip(NEXT) | instid1(VALU_DEP_2)
	s_cmp_eq_u32 s28, 0
	v_add_nc_u32_e32 v5, v4, v5
	s_delay_alu instid0(VALU_DEP_2) | instskip(NEXT) | instid1(VALU_DEP_2)
	v_sub_nc_u32_e32 v6, v3, v6
	v_lshrrev_b32_e32 v3, s45, v5
	s_delay_alu instid0(VALU_DEP_2) | instskip(NEXT) | instid1(VALU_DEP_2)
	v_mul_lo_u32 v7, v6, s40
	v_mul_lo_u32 v5, v3, s39
	s_delay_alu instid0(VALU_DEP_1) | instskip(SKIP_2) | instid1(VALU_DEP_3)
	v_sub_nc_u32_e32 v4, v4, v5
	v_mul_lo_u32 v5, v6, s41
	v_mul_lo_u32 v6, v6, s42
	;; [unrolled: 1-line block ×3, first 2 shown]
	s_waitcnt lgkmcnt(0)
	v_mul_lo_u32 v11, v4, s36
	v_mul_lo_u32 v4, v4, s37
	s_delay_alu instid0(VALU_DEP_3) | instskip(NEXT) | instid1(VALU_DEP_3)
	v_add3_u32 v2, v7, v2, v8
	v_add3_u32 v1, v5, v1, v11
	s_delay_alu instid0(VALU_DEP_3)
	v_add3_u32 v0, v6, v0, v4
	s_cbranch_scc0 .LBB5_21
; %bb.22:
	s_set_inst_prefetch_distance 0x2
	s_bitcmp1_b32 s30, 0
	s_cselect_b32 s28, -1, 0
	s_delay_alu instid0(SALU_CYCLE_1)
	s_and_b32 vcc_lo, exec_lo, s28
	s_cbranch_vccnz .LBB5_25
; %bb.23:
	s_clause 0x3
	s_load_b64 s[28:29], s[14:15], 0x18
	s_load_b32 s35, s[14:15], 0x20
	s_load_b64 s[36:37], s[14:15], 0xd8
	s_load_b32 s14, s[14:15], 0xe0
	s_waitcnt lgkmcnt(0)
	v_mul_hi_u32 v4, s29, v3
	s_delay_alu instid0(VALU_DEP_1) | instskip(NEXT) | instid1(VALU_DEP_1)
	v_add_nc_u32_e32 v4, v3, v4
	v_lshrrev_b32_e32 v4, s35, v4
	s_delay_alu instid0(VALU_DEP_1) | instskip(NEXT) | instid1(VALU_DEP_1)
	v_mul_lo_u32 v4, v4, s28
	v_sub_nc_u32_e32 v7, v3, v4
	s_delay_alu instid0(VALU_DEP_1) | instskip(SKIP_2) | instid1(VALU_DEP_2)
	v_mad_u64_u32 v[3:4], null, v7, s36, v[2:3]
	v_mad_u64_u32 v[4:5], null, v7, s37, v[1:2]
	;; [unrolled: 1-line block ×3, first 2 shown]
	v_dual_mov_b32 v2, v3 :: v_dual_mov_b32 v1, v4
	s_delay_alu instid0(VALU_DEP_2)
	v_mov_b32_e32 v0, v5
	s_branch .LBB5_25
.LBB5_24:
	s_mov_b32 s19, -1
                                        ; implicit-def: $vgpr2
                                        ; implicit-def: $vgpr1
                                        ; implicit-def: $vgpr0
.LBB5_25:
	s_delay_alu instid0(SALU_CYCLE_1)
	s_and_not1_b32 vcc_lo, exec_lo, s19
	s_cbranch_vccnz .LBB5_28
; %bb.26:
	v_mul_hi_u32 v0, s6, v9
	s_and_not1_b32 vcc_lo, exec_lo, s11
	s_delay_alu instid0(VALU_DEP_1) | instskip(NEXT) | instid1(VALU_DEP_1)
	v_add_nc_u32_e32 v0, v9, v0
	v_lshrrev_b32_e32 v3, s7, v0
	s_delay_alu instid0(VALU_DEP_1) | instskip(NEXT) | instid1(VALU_DEP_1)
	v_mul_lo_u32 v0, v3, s5
	v_sub_nc_u32_e32 v0, v9, v0
	s_delay_alu instid0(VALU_DEP_1)
	v_mul_lo_u32 v2, v0, s24
	v_mul_lo_u32 v1, v0, s25
	;; [unrolled: 1-line block ×3, first 2 shown]
	s_cbranch_vccnz .LBB5_28
; %bb.27:
	v_mul_hi_u32 v4, s9, v3
	s_delay_alu instid0(VALU_DEP_1) | instskip(NEXT) | instid1(VALU_DEP_1)
	v_add_nc_u32_e32 v4, v3, v4
	v_lshrrev_b32_e32 v4, s10, v4
	s_delay_alu instid0(VALU_DEP_1) | instskip(NEXT) | instid1(VALU_DEP_1)
	v_mul_lo_u32 v4, v4, s8
	v_sub_nc_u32_e32 v7, v3, v4
	s_delay_alu instid0(VALU_DEP_1) | instskip(SKIP_2) | instid1(VALU_DEP_2)
	v_mad_u64_u32 v[3:4], null, v7, s27, v[2:3]
	v_mad_u64_u32 v[4:5], null, v7, s12, v[1:2]
	;; [unrolled: 1-line block ×3, first 2 shown]
	v_dual_mov_b32 v2, v3 :: v_dual_mov_b32 v1, v4
	s_delay_alu instid0(VALU_DEP_2)
	v_mov_b32_e32 v0, v5
.LBB5_28:
	s_and_not1_b32 vcc_lo, exec_lo, s4
	s_cbranch_vccnz .LBB5_31
; %bb.29:
	global_load_b64 v[3:4], v2, s[20:21]
	v_add_co_u32 v5, s14, s20, v2
	s_delay_alu instid0(VALU_DEP_1) | instskip(SKIP_1) | instid1(VALU_DEP_1)
	v_add_co_ci_u32_e64 v6, null, s21, 0, s14
	v_add_co_u32 v1, s14, s22, v1
	v_add_co_ci_u32_e64 v2, null, s23, 0, s14
	v_add_co_u32 v7, s14, s2, v0
	s_delay_alu instid0(VALU_DEP_1)
	v_add_co_ci_u32_e64 v8, null, s3, 0, s14
	s_ashr_i32 s19, s18, 31
	s_ashr_i32 s29, s17, 31
	s_mov_b32 s28, s17
	s_lshl_b64 s[14:15], s[18:19], 3
	s_lshl_b64 s[28:29], s[28:29], 3
	s_mov_b32 s19, s16
	.p2align	6
.LBB5_30:                               ; =>This Inner Loop Header: Depth=1
	global_load_b64 v[11:12], v[1:2], off
	global_load_b64 v[13:14], v[7:8], off
	v_add_co_u32 v7, vcc_lo, v7, s14
	v_add_co_ci_u32_e32 v8, vcc_lo, s15, v8, vcc_lo
	v_add_co_u32 v1, vcc_lo, v1, s28
	v_add_co_ci_u32_e32 v2, vcc_lo, s29, v2, vcc_lo
	s_add_i32 s19, s19, -1
	s_delay_alu instid0(SALU_CYCLE_1)
	s_cmp_lg_u32 s19, 0
	s_waitcnt vmcnt(0)
	v_fma_f64 v[3:4], v[11:12], v[13:14], v[3:4]
	global_store_b64 v[5:6], v[3:4], off
	s_cbranch_scc1 .LBB5_30
.LBB5_31:
	v_add_nc_u32_e32 v9, 0x100, v9
	s_or_b32 exec_lo, exec_lo, s34
	s_delay_alu instid0(SALU_CYCLE_1) | instskip(NEXT) | instid1(VALU_DEP_1)
	s_mov_b32 s34, exec_lo
	v_cmpx_gt_i32_e64 s31, v9
	s_cbranch_execz .LBB5_3
.LBB5_32:
	v_cmp_ne_u32_e32 vcc_lo, 1, v10
	s_cbranch_vccnz .LBB5_38
; %bb.33:
	v_dual_mov_b32 v2, 0 :: v_dual_mov_b32 v1, 0
	v_mov_b32_e32 v0, 0
	s_and_not1_b32 vcc_lo, exec_lo, s33
	s_mov_b32 s19, 0
	s_cbranch_vccnz .LBB5_39
; %bb.34:
	s_add_i32 s14, s30, 1
	v_dual_mov_b32 v0, 0 :: v_dual_mov_b32 v1, 0
	v_dual_mov_b32 v2, 0 :: v_dual_mov_b32 v3, v9
	s_and_b32 s28, s14, 30
	s_add_u32 s14, s0, 0xffffffec
	s_addc_u32 s15, s1, -1
	s_set_inst_prefetch_distance 0x1
	.p2align	6
.LBB5_35:                               ; =>This Inner Loop Header: Depth=1
	s_clause 0x2
	s_load_b128 s[36:39], s[14:15], 0x18
	s_load_b64 s[44:45], s[14:15], 0x28
	s_load_b128 s[40:43], s[14:15], 0xd8
	s_waitcnt lgkmcnt(0)
	v_mul_hi_u32 v4, s37, v3
	s_delay_alu instid0(VALU_DEP_1) | instskip(NEXT) | instid1(VALU_DEP_1)
	v_add_nc_u32_e32 v4, v3, v4
	v_lshrrev_b32_e32 v4, s38, v4
	s_delay_alu instid0(VALU_DEP_1)
	v_mul_hi_u32 v5, s44, v4
	v_mul_lo_u32 v6, v4, s36
	s_load_b64 s[36:37], s[14:15], 0xe8
	s_add_u32 s14, s14, 24
	s_addc_u32 s15, s15, 0
	s_add_i32 s28, s28, -2
	s_delay_alu instid0(SALU_CYCLE_1) | instskip(NEXT) | instid1(VALU_DEP_2)
	s_cmp_eq_u32 s28, 0
	v_add_nc_u32_e32 v5, v4, v5
	s_delay_alu instid0(VALU_DEP_2) | instskip(NEXT) | instid1(VALU_DEP_2)
	v_sub_nc_u32_e32 v6, v3, v6
	v_lshrrev_b32_e32 v3, s45, v5
	s_delay_alu instid0(VALU_DEP_2) | instskip(NEXT) | instid1(VALU_DEP_2)
	v_mul_lo_u32 v7, v6, s40
	v_mul_lo_u32 v5, v3, s39
	s_delay_alu instid0(VALU_DEP_1) | instskip(SKIP_2) | instid1(VALU_DEP_3)
	v_sub_nc_u32_e32 v4, v4, v5
	v_mul_lo_u32 v5, v6, s41
	v_mul_lo_u32 v6, v6, s42
	;; [unrolled: 1-line block ×3, first 2 shown]
	s_waitcnt lgkmcnt(0)
	v_mul_lo_u32 v11, v4, s36
	v_mul_lo_u32 v4, v4, s37
	s_delay_alu instid0(VALU_DEP_3) | instskip(NEXT) | instid1(VALU_DEP_3)
	v_add3_u32 v2, v7, v2, v8
	v_add3_u32 v1, v5, v1, v11
	s_delay_alu instid0(VALU_DEP_3)
	v_add3_u32 v0, v6, v0, v4
	s_cbranch_scc0 .LBB5_35
; %bb.36:
	s_set_inst_prefetch_distance 0x2
	s_bitcmp1_b32 s30, 0
	s_cselect_b32 s28, -1, 0
	s_delay_alu instid0(SALU_CYCLE_1)
	s_and_b32 vcc_lo, exec_lo, s28
	s_cbranch_vccnz .LBB5_39
; %bb.37:
	s_clause 0x3
	s_load_b64 s[28:29], s[14:15], 0x18
	s_load_b32 s35, s[14:15], 0x20
	s_load_b64 s[36:37], s[14:15], 0xd8
	s_load_b32 s14, s[14:15], 0xe0
	s_waitcnt lgkmcnt(0)
	v_mul_hi_u32 v4, s29, v3
	s_delay_alu instid0(VALU_DEP_1) | instskip(NEXT) | instid1(VALU_DEP_1)
	v_add_nc_u32_e32 v4, v3, v4
	v_lshrrev_b32_e32 v4, s35, v4
	s_delay_alu instid0(VALU_DEP_1) | instskip(NEXT) | instid1(VALU_DEP_1)
	v_mul_lo_u32 v4, v4, s28
	v_sub_nc_u32_e32 v7, v3, v4
	s_delay_alu instid0(VALU_DEP_1) | instskip(SKIP_2) | instid1(VALU_DEP_2)
	v_mad_u64_u32 v[3:4], null, v7, s36, v[2:3]
	v_mad_u64_u32 v[4:5], null, v7, s37, v[1:2]
	;; [unrolled: 1-line block ×3, first 2 shown]
	v_dual_mov_b32 v2, v3 :: v_dual_mov_b32 v1, v4
	s_delay_alu instid0(VALU_DEP_2)
	v_mov_b32_e32 v0, v5
	s_branch .LBB5_39
.LBB5_38:
	s_mov_b32 s19, -1
                                        ; implicit-def: $vgpr2
                                        ; implicit-def: $vgpr1
                                        ; implicit-def: $vgpr0
.LBB5_39:
	s_delay_alu instid0(SALU_CYCLE_1)
	s_and_not1_b32 vcc_lo, exec_lo, s19
	s_cbranch_vccnz .LBB5_42
; %bb.40:
	v_mul_hi_u32 v0, s6, v9
	s_and_not1_b32 vcc_lo, exec_lo, s11
	s_delay_alu instid0(VALU_DEP_1) | instskip(NEXT) | instid1(VALU_DEP_1)
	v_add_nc_u32_e32 v0, v9, v0
	v_lshrrev_b32_e32 v3, s7, v0
	s_delay_alu instid0(VALU_DEP_1) | instskip(NEXT) | instid1(VALU_DEP_1)
	v_mul_lo_u32 v0, v3, s5
	v_sub_nc_u32_e32 v0, v9, v0
	s_delay_alu instid0(VALU_DEP_1)
	v_mul_lo_u32 v2, v0, s24
	v_mul_lo_u32 v1, v0, s25
	;; [unrolled: 1-line block ×3, first 2 shown]
	s_cbranch_vccnz .LBB5_42
; %bb.41:
	v_mul_hi_u32 v4, s9, v3
	s_delay_alu instid0(VALU_DEP_1) | instskip(NEXT) | instid1(VALU_DEP_1)
	v_add_nc_u32_e32 v4, v3, v4
	v_lshrrev_b32_e32 v4, s10, v4
	s_delay_alu instid0(VALU_DEP_1) | instskip(NEXT) | instid1(VALU_DEP_1)
	v_mul_lo_u32 v4, v4, s8
	v_sub_nc_u32_e32 v7, v3, v4
	s_delay_alu instid0(VALU_DEP_1) | instskip(SKIP_2) | instid1(VALU_DEP_2)
	v_mad_u64_u32 v[3:4], null, v7, s27, v[2:3]
	v_mad_u64_u32 v[4:5], null, v7, s12, v[1:2]
	;; [unrolled: 1-line block ×3, first 2 shown]
	v_dual_mov_b32 v2, v3 :: v_dual_mov_b32 v1, v4
	s_delay_alu instid0(VALU_DEP_2)
	v_mov_b32_e32 v0, v5
.LBB5_42:
	s_and_not1_b32 vcc_lo, exec_lo, s4
	s_cbranch_vccnz .LBB5_45
; %bb.43:
	global_load_b64 v[3:4], v2, s[20:21]
	v_add_co_u32 v5, s14, s20, v2
	s_delay_alu instid0(VALU_DEP_1) | instskip(SKIP_1) | instid1(VALU_DEP_1)
	v_add_co_ci_u32_e64 v6, null, s21, 0, s14
	v_add_co_u32 v1, s14, s22, v1
	v_add_co_ci_u32_e64 v2, null, s23, 0, s14
	v_add_co_u32 v7, s14, s2, v0
	s_delay_alu instid0(VALU_DEP_1)
	v_add_co_ci_u32_e64 v8, null, s3, 0, s14
	s_ashr_i32 s19, s18, 31
	s_ashr_i32 s29, s17, 31
	s_mov_b32 s28, s17
	s_lshl_b64 s[14:15], s[18:19], 3
	s_lshl_b64 s[28:29], s[28:29], 3
	s_mov_b32 s19, s16
	.p2align	6
.LBB5_44:                               ; =>This Inner Loop Header: Depth=1
	global_load_b64 v[11:12], v[1:2], off
	global_load_b64 v[13:14], v[7:8], off
	v_add_co_u32 v7, vcc_lo, v7, s14
	v_add_co_ci_u32_e32 v8, vcc_lo, s15, v8, vcc_lo
	v_add_co_u32 v1, vcc_lo, v1, s28
	v_add_co_ci_u32_e32 v2, vcc_lo, s29, v2, vcc_lo
	s_add_i32 s19, s19, -1
	s_delay_alu instid0(SALU_CYCLE_1)
	s_cmp_lg_u32 s19, 0
	s_waitcnt vmcnt(0)
	v_fma_f64 v[3:4], v[11:12], v[13:14], v[3:4]
	global_store_b64 v[5:6], v[3:4], off
	s_cbranch_scc1 .LBB5_44
.LBB5_45:
	v_add_nc_u32_e32 v9, 0x100, v9
	s_or_b32 exec_lo, exec_lo, s34
	s_delay_alu instid0(SALU_CYCLE_1) | instskip(NEXT) | instid1(VALU_DEP_1)
	s_mov_b32 s14, exec_lo
	v_cmpx_gt_i32_e64 s31, v9
	s_cbranch_execz .LBB5_59
.LBB5_46:
	v_cmp_ne_u32_e32 vcc_lo, 1, v10
	s_cbranch_vccnz .LBB5_52
; %bb.47:
	v_dual_mov_b32 v2, 0 :: v_dual_mov_b32 v1, 0
	v_mov_b32_e32 v0, 0
	s_and_not1_b32 vcc_lo, exec_lo, s33
	s_mov_b32 s14, 0
	s_cbranch_vccnz .LBB5_53
; %bb.48:
	s_add_i32 s15, s30, 1
	v_dual_mov_b32 v0, 0 :: v_dual_mov_b32 v1, 0
	v_dual_mov_b32 v2, 0 :: v_dual_mov_b32 v3, v9
	s_and_b32 s15, s15, 30
	s_add_u32 s0, s0, 0xffffffec
	s_addc_u32 s1, s1, -1
	s_set_inst_prefetch_distance 0x1
	.p2align	6
.LBB5_49:                               ; =>This Inner Loop Header: Depth=1
	s_clause 0x3
	s_load_b128 s[36:39], s[0:1], 0x18
	s_load_b64 s[28:29], s[0:1], 0x28
	s_load_b128 s[40:43], s[0:1], 0xd8
	s_load_b64 s[34:35], s[0:1], 0xe8
	s_add_u32 s0, s0, 24
	s_addc_u32 s1, s1, 0
	s_add_i32 s15, s15, -2
	s_delay_alu instid0(SALU_CYCLE_1) | instskip(SKIP_2) | instid1(VALU_DEP_1)
	s_cmp_eq_u32 s15, 0
	s_waitcnt lgkmcnt(0)
	v_mul_hi_u32 v4, s37, v3
	v_add_nc_u32_e32 v4, v3, v4
	s_delay_alu instid0(VALU_DEP_1) | instskip(NEXT) | instid1(VALU_DEP_1)
	v_lshrrev_b32_e32 v4, s38, v4
	v_mul_hi_u32 v5, s28, v4
	v_mul_lo_u32 v6, v4, s36
	s_delay_alu instid0(VALU_DEP_2) | instskip(NEXT) | instid1(VALU_DEP_2)
	v_add_nc_u32_e32 v5, v4, v5
	v_sub_nc_u32_e32 v6, v3, v6
	s_delay_alu instid0(VALU_DEP_2) | instskip(NEXT) | instid1(VALU_DEP_2)
	v_lshrrev_b32_e32 v3, s29, v5
	v_mul_lo_u32 v7, v6, s40
	s_delay_alu instid0(VALU_DEP_2) | instskip(NEXT) | instid1(VALU_DEP_1)
	v_mul_lo_u32 v5, v3, s39
	v_sub_nc_u32_e32 v4, v4, v5
	v_mul_lo_u32 v5, v6, s41
	v_mul_lo_u32 v6, v6, s42
	s_delay_alu instid0(VALU_DEP_3) | instskip(SKIP_2) | instid1(VALU_DEP_3)
	v_mul_lo_u32 v8, v4, s43
	v_mul_lo_u32 v10, v4, s34
	;; [unrolled: 1-line block ×3, first 2 shown]
	v_add3_u32 v2, v7, v2, v8
	s_delay_alu instid0(VALU_DEP_3) | instskip(NEXT) | instid1(VALU_DEP_3)
	v_add3_u32 v1, v5, v1, v10
	v_add3_u32 v0, v6, v0, v4
	s_cbranch_scc0 .LBB5_49
; %bb.50:
	s_set_inst_prefetch_distance 0x2
	s_bitcmp1_b32 s30, 0
	s_cselect_b32 s15, -1, 0
	s_delay_alu instid0(SALU_CYCLE_1)
	s_and_b32 vcc_lo, exec_lo, s15
	s_cbranch_vccnz .LBB5_53
; %bb.51:
	s_clause 0x3
	s_load_b64 s[28:29], s[0:1], 0x18
	s_load_b32 s15, s[0:1], 0x20
	s_load_b64 s[30:31], s[0:1], 0xd8
	s_load_b32 s0, s[0:1], 0xe0
	s_waitcnt lgkmcnt(0)
	v_mul_hi_u32 v4, s29, v3
	s_delay_alu instid0(VALU_DEP_1) | instskip(NEXT) | instid1(VALU_DEP_1)
	v_add_nc_u32_e32 v4, v3, v4
	v_lshrrev_b32_e32 v4, s15, v4
	s_delay_alu instid0(VALU_DEP_1) | instskip(NEXT) | instid1(VALU_DEP_1)
	v_mul_lo_u32 v4, v4, s28
	v_sub_nc_u32_e32 v7, v3, v4
	s_delay_alu instid0(VALU_DEP_1) | instskip(SKIP_2) | instid1(VALU_DEP_2)
	v_mad_u64_u32 v[3:4], null, v7, s30, v[2:3]
	v_mad_u64_u32 v[4:5], null, v7, s31, v[1:2]
	;; [unrolled: 1-line block ×3, first 2 shown]
	v_dual_mov_b32 v2, v3 :: v_dual_mov_b32 v1, v4
	s_delay_alu instid0(VALU_DEP_2)
	v_mov_b32_e32 v0, v5
	s_branch .LBB5_53
.LBB5_52:
	s_mov_b32 s14, -1
                                        ; implicit-def: $vgpr2
                                        ; implicit-def: $vgpr1
                                        ; implicit-def: $vgpr0
.LBB5_53:
	s_delay_alu instid0(SALU_CYCLE_1)
	s_and_not1_b32 vcc_lo, exec_lo, s14
	s_cbranch_vccnz .LBB5_56
; %bb.54:
	v_mul_hi_u32 v0, s6, v9
	s_and_not1_b32 vcc_lo, exec_lo, s11
	s_delay_alu instid0(VALU_DEP_1) | instskip(NEXT) | instid1(VALU_DEP_1)
	v_add_nc_u32_e32 v0, v9, v0
	v_lshrrev_b32_e32 v3, s7, v0
	s_delay_alu instid0(VALU_DEP_1) | instskip(NEXT) | instid1(VALU_DEP_1)
	v_mul_lo_u32 v0, v3, s5
	v_sub_nc_u32_e32 v0, v9, v0
	s_delay_alu instid0(VALU_DEP_1)
	v_mul_lo_u32 v2, v0, s24
	v_mul_lo_u32 v1, v0, s25
	;; [unrolled: 1-line block ×3, first 2 shown]
	s_cbranch_vccnz .LBB5_56
; %bb.55:
	v_mul_hi_u32 v4, s9, v3
	s_delay_alu instid0(VALU_DEP_1) | instskip(NEXT) | instid1(VALU_DEP_1)
	v_add_nc_u32_e32 v4, v3, v4
	v_lshrrev_b32_e32 v4, s10, v4
	s_delay_alu instid0(VALU_DEP_1) | instskip(NEXT) | instid1(VALU_DEP_1)
	v_mul_lo_u32 v4, v4, s8
	v_sub_nc_u32_e32 v7, v3, v4
	s_delay_alu instid0(VALU_DEP_1) | instskip(SKIP_2) | instid1(VALU_DEP_2)
	v_mad_u64_u32 v[3:4], null, v7, s27, v[2:3]
	v_mad_u64_u32 v[4:5], null, v7, s12, v[1:2]
	;; [unrolled: 1-line block ×3, first 2 shown]
	v_dual_mov_b32 v2, v3 :: v_dual_mov_b32 v1, v4
	s_delay_alu instid0(VALU_DEP_2)
	v_mov_b32_e32 v0, v5
.LBB5_56:
	s_and_not1_b32 vcc_lo, exec_lo, s4
	s_cbranch_vccnz .LBB5_59
; %bb.57:
	global_load_b64 v[3:4], v2, s[20:21]
	v_add_co_u32 v5, s0, s20, v2
	s_delay_alu instid0(VALU_DEP_1) | instskip(SKIP_1) | instid1(VALU_DEP_1)
	v_add_co_ci_u32_e64 v6, null, s21, 0, s0
	v_add_co_u32 v1, s0, s22, v1
	v_add_co_ci_u32_e64 v2, null, s23, 0, s0
	v_add_co_u32 v7, s0, s2, v0
	s_delay_alu instid0(VALU_DEP_1)
	v_add_co_ci_u32_e64 v8, null, s3, 0, s0
	s_ashr_i32 s19, s18, 31
	s_ashr_i32 s3, s17, 31
	s_mov_b32 s2, s17
	s_lshl_b64 s[0:1], s[18:19], 3
	s_lshl_b64 s[2:3], s[2:3], 3
	.p2align	6
.LBB5_58:                               ; =>This Inner Loop Header: Depth=1
	global_load_b64 v[9:10], v[1:2], off
	global_load_b64 v[11:12], v[7:8], off
	v_add_co_u32 v7, vcc_lo, v7, s0
	v_add_co_ci_u32_e32 v8, vcc_lo, s1, v8, vcc_lo
	v_add_co_u32 v1, vcc_lo, v1, s2
	v_add_co_ci_u32_e32 v2, vcc_lo, s3, v2, vcc_lo
	s_add_i32 s16, s16, -1
	s_delay_alu instid0(SALU_CYCLE_1)
	s_cmp_lg_u32 s16, 0
	s_waitcnt vmcnt(0)
	v_fma_f64 v[3:4], v[9:10], v[11:12], v[3:4]
	global_store_b64 v[5:6], v[3:4], off
	s_cbranch_scc1 .LBB5_58
.LBB5_59:
	s_nop 0
	s_sendmsg sendmsg(MSG_DEALLOC_VGPRS)
	s_endpgm
	.section	.rodata,"a",@progbits
	.p2align	6, 0x0
	.amdhsa_kernel _ZN2at6native12_GLOBAL__N_116_elemwise_kernelILi256ELi4EZNS1_43_compute_linear_combination_internal_kernelIdEEvRNS_14TensorIteratorEiiiEUliE_EEviT1_
		.amdhsa_group_segment_fixed_size 0
		.amdhsa_private_segment_fixed_size 0
		.amdhsa_kernarg_size 440
		.amdhsa_user_sgpr_count 15
		.amdhsa_user_sgpr_dispatch_ptr 0
		.amdhsa_user_sgpr_queue_ptr 0
		.amdhsa_user_sgpr_kernarg_segment_ptr 1
		.amdhsa_user_sgpr_dispatch_id 0
		.amdhsa_user_sgpr_private_segment_size 0
		.amdhsa_wavefront_size32 1
		.amdhsa_uses_dynamic_stack 0
		.amdhsa_enable_private_segment 0
		.amdhsa_system_sgpr_workgroup_id_x 1
		.amdhsa_system_sgpr_workgroup_id_y 0
		.amdhsa_system_sgpr_workgroup_id_z 0
		.amdhsa_system_sgpr_workgroup_info 0
		.amdhsa_system_vgpr_workitem_id 0
		.amdhsa_next_free_vgpr 15
		.amdhsa_next_free_sgpr 46
		.amdhsa_reserve_vcc 1
		.amdhsa_float_round_mode_32 0
		.amdhsa_float_round_mode_16_64 0
		.amdhsa_float_denorm_mode_32 3
		.amdhsa_float_denorm_mode_16_64 3
		.amdhsa_dx10_clamp 1
		.amdhsa_ieee_mode 1
		.amdhsa_fp16_overflow 0
		.amdhsa_workgroup_processor_mode 1
		.amdhsa_memory_ordered 1
		.amdhsa_forward_progress 0
		.amdhsa_shared_vgpr_count 0
		.amdhsa_exception_fp_ieee_invalid_op 0
		.amdhsa_exception_fp_denorm_src 0
		.amdhsa_exception_fp_ieee_div_zero 0
		.amdhsa_exception_fp_ieee_overflow 0
		.amdhsa_exception_fp_ieee_underflow 0
		.amdhsa_exception_fp_ieee_inexact 0
		.amdhsa_exception_int_div_zero 0
	.end_amdhsa_kernel
	.section	.text._ZN2at6native12_GLOBAL__N_116_elemwise_kernelILi256ELi4EZNS1_43_compute_linear_combination_internal_kernelIdEEvRNS_14TensorIteratorEiiiEUliE_EEviT1_,"axG",@progbits,_ZN2at6native12_GLOBAL__N_116_elemwise_kernelILi256ELi4EZNS1_43_compute_linear_combination_internal_kernelIdEEvRNS_14TensorIteratorEiiiEUliE_EEviT1_,comdat
.Lfunc_end5:
	.size	_ZN2at6native12_GLOBAL__N_116_elemwise_kernelILi256ELi4EZNS1_43_compute_linear_combination_internal_kernelIdEEvRNS_14TensorIteratorEiiiEUliE_EEviT1_, .Lfunc_end5-_ZN2at6native12_GLOBAL__N_116_elemwise_kernelILi256ELi4EZNS1_43_compute_linear_combination_internal_kernelIdEEvRNS_14TensorIteratorEiiiEUliE_EEviT1_
                                        ; -- End function
	.section	.AMDGPU.csdata,"",@progbits
; Kernel info:
; codeLenInByte = 3448
; NumSgprs: 48
; NumVgprs: 15
; ScratchSize: 0
; MemoryBound: 0
; FloatMode: 240
; IeeeMode: 1
; LDSByteSize: 0 bytes/workgroup (compile time only)
; SGPRBlocks: 5
; VGPRBlocks: 1
; NumSGPRsForWavesPerEU: 48
; NumVGPRsForWavesPerEU: 15
; Occupancy: 16
; WaveLimiterHint : 1
; COMPUTE_PGM_RSRC2:SCRATCH_EN: 0
; COMPUTE_PGM_RSRC2:USER_SGPR: 15
; COMPUTE_PGM_RSRC2:TRAP_HANDLER: 0
; COMPUTE_PGM_RSRC2:TGID_X_EN: 1
; COMPUTE_PGM_RSRC2:TGID_Y_EN: 0
; COMPUTE_PGM_RSRC2:TGID_Z_EN: 0
; COMPUTE_PGM_RSRC2:TIDIG_COMP_CNT: 0
	.section	.text._ZN2at6native12_GLOBAL__N_116_elemwise_kernelILi256ELi4EZNS1_43_compute_linear_combination_internal_kernelIfEEvRNS_14TensorIteratorEiiiEUliE_EEviT1_,"axG",@progbits,_ZN2at6native12_GLOBAL__N_116_elemwise_kernelILi256ELi4EZNS1_43_compute_linear_combination_internal_kernelIfEEvRNS_14TensorIteratorEiiiEUliE_EEviT1_,comdat
	.globl	_ZN2at6native12_GLOBAL__N_116_elemwise_kernelILi256ELi4EZNS1_43_compute_linear_combination_internal_kernelIfEEvRNS_14TensorIteratorEiiiEUliE_EEviT1_ ; -- Begin function _ZN2at6native12_GLOBAL__N_116_elemwise_kernelILi256ELi4EZNS1_43_compute_linear_combination_internal_kernelIfEEvRNS_14TensorIteratorEiiiEUliE_EEviT1_
	.p2align	8
	.type	_ZN2at6native12_GLOBAL__N_116_elemwise_kernelILi256ELi4EZNS1_43_compute_linear_combination_internal_kernelIfEEvRNS_14TensorIteratorEiiiEUliE_EEviT1_,@function
_ZN2at6native12_GLOBAL__N_116_elemwise_kernelILi256ELi4EZNS1_43_compute_linear_combination_internal_kernelIfEEvRNS_14TensorIteratorEiiiEUliE_EEviT1_: ; @_ZN2at6native12_GLOBAL__N_116_elemwise_kernelILi256ELi4EZNS1_43_compute_linear_combination_internal_kernelIfEEvRNS_14TensorIteratorEiiiEUliE_EEviT1_
; %bb.0:
	s_clause 0x6
	s_load_b256 s[4:11], s[0:1], 0x8
	s_load_b32 s31, s[0:1], 0x0
	s_load_b128 s[16:19], s[0:1], 0x1a8
	s_load_b128 s[24:27], s[0:1], 0xcc
	s_load_b64 s[12:13], s[0:1], 0xdc
	s_load_b64 s[2:3], s[0:1], 0x1a0
	s_load_b128 s[20:23], s[0:1], 0x190
	s_or_b32 s0, s0, 8
	v_lshl_or_b32 v6, s15, 10, v0
	s_waitcnt lgkmcnt(0)
	s_mov_b32 s19, -1
	s_mov_b32 s34, exec_lo
	s_add_i32 s11, s4, -1
	s_delay_alu instid0(SALU_CYCLE_1)
	s_cmp_gt_u32 s11, 1
	s_cselect_b32 s14, -1, 0
	s_cmp_lg_u32 s4, 0
	v_cndmask_b32_e64 v7, 0, 1, s14
	s_cselect_b32 s33, -1, 0
	s_min_u32 s30, s11, 15
	s_cmp_gt_u32 s4, 1
	s_cselect_b32 s11, -1, 0
	s_cmp_gt_i32 s16, 0
	s_cselect_b32 s4, -1, 0
	v_cmpx_gt_i32_e64 s31, v6
	s_cbranch_execnz .LBB6_4
; %bb.1:
	s_or_b32 exec_lo, exec_lo, s34
	s_delay_alu instid0(SALU_CYCLE_1)
	s_mov_b32 s34, exec_lo
	v_cmpx_gt_i32_e64 s31, v6
	s_cbranch_execnz .LBB6_18
.LBB6_2:
	s_or_b32 exec_lo, exec_lo, s34
	s_delay_alu instid0(SALU_CYCLE_1)
	s_mov_b32 s34, exec_lo
	v_cmpx_gt_i32_e64 s31, v6
	s_cbranch_execnz .LBB6_32
.LBB6_3:
	s_or_b32 exec_lo, exec_lo, s34
	s_delay_alu instid0(SALU_CYCLE_1)
	s_mov_b32 s14, exec_lo
	v_cmpx_gt_i32_e64 s31, v6
	s_cbranch_execnz .LBB6_46
	s_branch .LBB6_59
.LBB6_4:
	s_and_not1_b32 vcc_lo, exec_lo, s14
	s_cbranch_vccnz .LBB6_10
; %bb.5:
	v_dual_mov_b32 v2, 0 :: v_dual_mov_b32 v1, 0
	v_mov_b32_e32 v0, 0
	s_and_not1_b32 vcc_lo, exec_lo, s33
	s_mov_b32 s19, 0
	s_cbranch_vccnz .LBB6_11
; %bb.6:
	s_add_i32 s14, s30, 1
	v_dual_mov_b32 v0, 0 :: v_dual_mov_b32 v1, 0
	v_dual_mov_b32 v2, 0 :: v_dual_mov_b32 v3, v6
	s_and_b32 s28, s14, 30
	s_add_u32 s14, s0, 0xffffffec
	s_addc_u32 s15, s1, -1
	s_set_inst_prefetch_distance 0x1
	.p2align	6
.LBB6_7:                                ; =>This Inner Loop Header: Depth=1
	s_clause 0x2
	s_load_b128 s[36:39], s[14:15], 0x18
	s_load_b64 s[44:45], s[14:15], 0x28
	s_load_b128 s[40:43], s[14:15], 0xd8
	s_waitcnt lgkmcnt(0)
	v_mul_hi_u32 v4, s37, v3
	s_delay_alu instid0(VALU_DEP_1) | instskip(NEXT) | instid1(VALU_DEP_1)
	v_add_nc_u32_e32 v4, v3, v4
	v_lshrrev_b32_e32 v4, s38, v4
	s_delay_alu instid0(VALU_DEP_1)
	v_mul_hi_u32 v5, s44, v4
	v_mul_lo_u32 v8, v4, s36
	s_load_b64 s[36:37], s[14:15], 0xe8
	s_add_u32 s14, s14, 24
	s_addc_u32 s15, s15, 0
	s_add_i32 s28, s28, -2
	s_delay_alu instid0(SALU_CYCLE_1) | instskip(NEXT) | instid1(VALU_DEP_2)
	s_cmp_lg_u32 s28, 0
	v_add_nc_u32_e32 v5, v4, v5
	s_delay_alu instid0(VALU_DEP_2) | instskip(NEXT) | instid1(VALU_DEP_2)
	v_sub_nc_u32_e32 v8, v3, v8
	v_lshrrev_b32_e32 v3, s45, v5
	s_delay_alu instid0(VALU_DEP_2) | instskip(NEXT) | instid1(VALU_DEP_2)
	v_mul_lo_u32 v9, v8, s40
	v_mul_lo_u32 v5, v3, s39
	s_delay_alu instid0(VALU_DEP_1) | instskip(SKIP_2) | instid1(VALU_DEP_3)
	v_sub_nc_u32_e32 v4, v4, v5
	v_mul_lo_u32 v5, v8, s41
	v_mul_lo_u32 v8, v8, s42
	;; [unrolled: 1-line block ×3, first 2 shown]
	s_waitcnt lgkmcnt(0)
	v_mul_lo_u32 v11, v4, s36
	v_mul_lo_u32 v4, v4, s37
	s_delay_alu instid0(VALU_DEP_3) | instskip(NEXT) | instid1(VALU_DEP_3)
	v_add3_u32 v2, v9, v2, v10
	v_add3_u32 v1, v5, v1, v11
	s_delay_alu instid0(VALU_DEP_3)
	v_add3_u32 v0, v8, v0, v4
	s_cbranch_scc1 .LBB6_7
; %bb.8:
	s_set_inst_prefetch_distance 0x2
	s_bitcmp1_b32 s30, 0
	s_cselect_b32 s28, -1, 0
	s_delay_alu instid0(SALU_CYCLE_1)
	s_and_b32 vcc_lo, exec_lo, s28
	s_cbranch_vccnz .LBB6_11
; %bb.9:
	s_clause 0x3
	s_load_b64 s[28:29], s[14:15], 0x18
	s_load_b32 s35, s[14:15], 0x20
	s_load_b64 s[36:37], s[14:15], 0xd8
	s_load_b32 s14, s[14:15], 0xe0
	s_waitcnt lgkmcnt(0)
	v_mul_hi_u32 v4, s29, v3
	s_delay_alu instid0(VALU_DEP_1) | instskip(NEXT) | instid1(VALU_DEP_1)
	v_add_nc_u32_e32 v4, v3, v4
	v_lshrrev_b32_e32 v4, s35, v4
	s_delay_alu instid0(VALU_DEP_1) | instskip(NEXT) | instid1(VALU_DEP_1)
	v_mul_lo_u32 v4, v4, s28
	v_sub_nc_u32_e32 v10, v3, v4
	s_delay_alu instid0(VALU_DEP_1) | instskip(SKIP_2) | instid1(VALU_DEP_2)
	v_mad_u64_u32 v[3:4], null, v10, s36, v[2:3]
	v_mad_u64_u32 v[4:5], null, v10, s37, v[1:2]
	v_mad_u64_u32 v[8:9], null, v10, s14, v[0:1]
	v_dual_mov_b32 v2, v3 :: v_dual_mov_b32 v1, v4
	s_delay_alu instid0(VALU_DEP_2)
	v_mov_b32_e32 v0, v8
	s_branch .LBB6_11
.LBB6_10:
                                        ; implicit-def: $vgpr2
                                        ; implicit-def: $vgpr1
                                        ; implicit-def: $vgpr0
.LBB6_11:
	s_and_not1_b32 vcc_lo, exec_lo, s19
	s_cbranch_vccnz .LBB6_14
; %bb.12:
	v_mul_hi_u32 v0, s6, v6
	s_and_not1_b32 vcc_lo, exec_lo, s11
	s_delay_alu instid0(VALU_DEP_1) | instskip(NEXT) | instid1(VALU_DEP_1)
	v_add_nc_u32_e32 v0, v6, v0
	v_lshrrev_b32_e32 v3, s7, v0
	s_delay_alu instid0(VALU_DEP_1) | instskip(NEXT) | instid1(VALU_DEP_1)
	v_mul_lo_u32 v0, v3, s5
	v_sub_nc_u32_e32 v0, v6, v0
	s_delay_alu instid0(VALU_DEP_1)
	v_mul_lo_u32 v2, v0, s24
	v_mul_lo_u32 v1, v0, s25
	;; [unrolled: 1-line block ×3, first 2 shown]
	s_cbranch_vccnz .LBB6_14
; %bb.13:
	v_mul_hi_u32 v4, s9, v3
	s_delay_alu instid0(VALU_DEP_1) | instskip(NEXT) | instid1(VALU_DEP_1)
	v_add_nc_u32_e32 v4, v3, v4
	v_lshrrev_b32_e32 v4, s10, v4
	s_delay_alu instid0(VALU_DEP_1) | instskip(NEXT) | instid1(VALU_DEP_1)
	v_mul_lo_u32 v4, v4, s8
	v_sub_nc_u32_e32 v10, v3, v4
	s_delay_alu instid0(VALU_DEP_1) | instskip(SKIP_2) | instid1(VALU_DEP_2)
	v_mad_u64_u32 v[3:4], null, v10, s27, v[2:3]
	v_mad_u64_u32 v[4:5], null, v10, s12, v[1:2]
	;; [unrolled: 1-line block ×3, first 2 shown]
	v_dual_mov_b32 v2, v3 :: v_dual_mov_b32 v1, v4
	s_delay_alu instid0(VALU_DEP_2)
	v_mov_b32_e32 v0, v8
.LBB6_14:
	s_and_not1_b32 vcc_lo, exec_lo, s4
	s_cbranch_vccnz .LBB6_17
; %bb.15:
	global_load_b32 v8, v2, s[20:21]
	v_add_co_u32 v2, s14, s20, v2
	s_delay_alu instid0(VALU_DEP_1) | instskip(SKIP_1) | instid1(VALU_DEP_1)
	v_add_co_ci_u32_e64 v3, null, s21, 0, s14
	v_add_co_u32 v4, s14, s22, v1
	v_add_co_ci_u32_e64 v5, null, s23, 0, s14
	v_add_co_u32 v0, s14, s2, v0
	s_delay_alu instid0(VALU_DEP_1)
	v_add_co_ci_u32_e64 v1, null, s3, 0, s14
	s_ashr_i32 s19, s18, 31
	s_ashr_i32 s29, s17, 31
	s_mov_b32 s28, s17
	s_lshl_b64 s[14:15], s[18:19], 2
	s_lshl_b64 s[28:29], s[28:29], 2
	s_mov_b32 s19, s16
.LBB6_16:                               ; =>This Inner Loop Header: Depth=1
	global_load_b32 v9, v[4:5], off
	global_load_b32 v10, v[0:1], off
	v_add_co_u32 v0, vcc_lo, v0, s14
	v_add_co_ci_u32_e32 v1, vcc_lo, s15, v1, vcc_lo
	v_add_co_u32 v4, vcc_lo, v4, s28
	v_add_co_ci_u32_e32 v5, vcc_lo, s29, v5, vcc_lo
	s_add_i32 s19, s19, -1
	s_delay_alu instid0(SALU_CYCLE_1)
	s_cmp_lg_u32 s19, 0
	s_waitcnt vmcnt(0)
	v_fmac_f32_e32 v8, v9, v10
	global_store_b32 v[2:3], v8, off
	s_cbranch_scc1 .LBB6_16
.LBB6_17:
	v_add_nc_u32_e32 v6, 0x100, v6
	s_or_b32 exec_lo, exec_lo, s34
	s_delay_alu instid0(SALU_CYCLE_1) | instskip(NEXT) | instid1(VALU_DEP_1)
	s_mov_b32 s34, exec_lo
	v_cmpx_gt_i32_e64 s31, v6
	s_cbranch_execz .LBB6_2
.LBB6_18:
	v_cmp_ne_u32_e32 vcc_lo, 1, v7
	s_cbranch_vccnz .LBB6_24
; %bb.19:
	v_dual_mov_b32 v2, 0 :: v_dual_mov_b32 v1, 0
	v_mov_b32_e32 v0, 0
	s_and_not1_b32 vcc_lo, exec_lo, s33
	s_mov_b32 s19, 0
	s_cbranch_vccnz .LBB6_25
; %bb.20:
	s_add_i32 s14, s30, 1
	v_dual_mov_b32 v0, 0 :: v_dual_mov_b32 v1, 0
	v_dual_mov_b32 v2, 0 :: v_dual_mov_b32 v3, v6
	s_and_b32 s28, s14, 30
	s_add_u32 s14, s0, 0xffffffec
	s_addc_u32 s15, s1, -1
	s_set_inst_prefetch_distance 0x1
	.p2align	6
.LBB6_21:                               ; =>This Inner Loop Header: Depth=1
	s_clause 0x2
	s_load_b128 s[36:39], s[14:15], 0x18
	s_load_b64 s[44:45], s[14:15], 0x28
	s_load_b128 s[40:43], s[14:15], 0xd8
	s_waitcnt lgkmcnt(0)
	v_mul_hi_u32 v4, s37, v3
	s_delay_alu instid0(VALU_DEP_1) | instskip(NEXT) | instid1(VALU_DEP_1)
	v_add_nc_u32_e32 v4, v3, v4
	v_lshrrev_b32_e32 v4, s38, v4
	s_delay_alu instid0(VALU_DEP_1)
	v_mul_hi_u32 v5, s44, v4
	v_mul_lo_u32 v8, v4, s36
	s_load_b64 s[36:37], s[14:15], 0xe8
	s_add_u32 s14, s14, 24
	s_addc_u32 s15, s15, 0
	s_add_i32 s28, s28, -2
	s_delay_alu instid0(SALU_CYCLE_1) | instskip(NEXT) | instid1(VALU_DEP_2)
	s_cmp_eq_u32 s28, 0
	v_add_nc_u32_e32 v5, v4, v5
	s_delay_alu instid0(VALU_DEP_2) | instskip(NEXT) | instid1(VALU_DEP_2)
	v_sub_nc_u32_e32 v8, v3, v8
	v_lshrrev_b32_e32 v3, s45, v5
	s_delay_alu instid0(VALU_DEP_2) | instskip(NEXT) | instid1(VALU_DEP_2)
	v_mul_lo_u32 v9, v8, s40
	v_mul_lo_u32 v5, v3, s39
	s_delay_alu instid0(VALU_DEP_1) | instskip(SKIP_2) | instid1(VALU_DEP_3)
	v_sub_nc_u32_e32 v4, v4, v5
	v_mul_lo_u32 v5, v8, s41
	v_mul_lo_u32 v8, v8, s42
	;; [unrolled: 1-line block ×3, first 2 shown]
	s_waitcnt lgkmcnt(0)
	v_mul_lo_u32 v11, v4, s36
	v_mul_lo_u32 v4, v4, s37
	s_delay_alu instid0(VALU_DEP_3) | instskip(NEXT) | instid1(VALU_DEP_3)
	v_add3_u32 v2, v9, v2, v10
	v_add3_u32 v1, v5, v1, v11
	s_delay_alu instid0(VALU_DEP_3)
	v_add3_u32 v0, v8, v0, v4
	s_cbranch_scc0 .LBB6_21
; %bb.22:
	s_set_inst_prefetch_distance 0x2
	s_bitcmp1_b32 s30, 0
	s_cselect_b32 s28, -1, 0
	s_delay_alu instid0(SALU_CYCLE_1)
	s_and_b32 vcc_lo, exec_lo, s28
	s_cbranch_vccnz .LBB6_25
; %bb.23:
	s_clause 0x3
	s_load_b64 s[28:29], s[14:15], 0x18
	s_load_b32 s35, s[14:15], 0x20
	s_load_b64 s[36:37], s[14:15], 0xd8
	s_load_b32 s14, s[14:15], 0xe0
	s_waitcnt lgkmcnt(0)
	v_mul_hi_u32 v4, s29, v3
	s_delay_alu instid0(VALU_DEP_1) | instskip(NEXT) | instid1(VALU_DEP_1)
	v_add_nc_u32_e32 v4, v3, v4
	v_lshrrev_b32_e32 v4, s35, v4
	s_delay_alu instid0(VALU_DEP_1) | instskip(NEXT) | instid1(VALU_DEP_1)
	v_mul_lo_u32 v4, v4, s28
	v_sub_nc_u32_e32 v10, v3, v4
	s_delay_alu instid0(VALU_DEP_1) | instskip(SKIP_2) | instid1(VALU_DEP_2)
	v_mad_u64_u32 v[3:4], null, v10, s36, v[2:3]
	v_mad_u64_u32 v[4:5], null, v10, s37, v[1:2]
	v_mad_u64_u32 v[8:9], null, v10, s14, v[0:1]
	v_dual_mov_b32 v2, v3 :: v_dual_mov_b32 v1, v4
	s_delay_alu instid0(VALU_DEP_2)
	v_mov_b32_e32 v0, v8
	s_branch .LBB6_25
.LBB6_24:
	s_mov_b32 s19, -1
                                        ; implicit-def: $vgpr2
                                        ; implicit-def: $vgpr1
                                        ; implicit-def: $vgpr0
.LBB6_25:
	s_delay_alu instid0(SALU_CYCLE_1)
	s_and_not1_b32 vcc_lo, exec_lo, s19
	s_cbranch_vccnz .LBB6_28
; %bb.26:
	v_mul_hi_u32 v0, s6, v6
	s_and_not1_b32 vcc_lo, exec_lo, s11
	s_delay_alu instid0(VALU_DEP_1) | instskip(NEXT) | instid1(VALU_DEP_1)
	v_add_nc_u32_e32 v0, v6, v0
	v_lshrrev_b32_e32 v3, s7, v0
	s_delay_alu instid0(VALU_DEP_1) | instskip(NEXT) | instid1(VALU_DEP_1)
	v_mul_lo_u32 v0, v3, s5
	v_sub_nc_u32_e32 v0, v6, v0
	s_delay_alu instid0(VALU_DEP_1)
	v_mul_lo_u32 v2, v0, s24
	v_mul_lo_u32 v1, v0, s25
	;; [unrolled: 1-line block ×3, first 2 shown]
	s_cbranch_vccnz .LBB6_28
; %bb.27:
	v_mul_hi_u32 v4, s9, v3
	s_delay_alu instid0(VALU_DEP_1) | instskip(NEXT) | instid1(VALU_DEP_1)
	v_add_nc_u32_e32 v4, v3, v4
	v_lshrrev_b32_e32 v4, s10, v4
	s_delay_alu instid0(VALU_DEP_1) | instskip(NEXT) | instid1(VALU_DEP_1)
	v_mul_lo_u32 v4, v4, s8
	v_sub_nc_u32_e32 v10, v3, v4
	s_delay_alu instid0(VALU_DEP_1) | instskip(SKIP_2) | instid1(VALU_DEP_2)
	v_mad_u64_u32 v[3:4], null, v10, s27, v[2:3]
	v_mad_u64_u32 v[4:5], null, v10, s12, v[1:2]
	;; [unrolled: 1-line block ×3, first 2 shown]
	v_dual_mov_b32 v2, v3 :: v_dual_mov_b32 v1, v4
	s_delay_alu instid0(VALU_DEP_2)
	v_mov_b32_e32 v0, v8
.LBB6_28:
	s_and_not1_b32 vcc_lo, exec_lo, s4
	s_cbranch_vccnz .LBB6_31
; %bb.29:
	global_load_b32 v8, v2, s[20:21]
	v_add_co_u32 v2, s14, s20, v2
	s_delay_alu instid0(VALU_DEP_1) | instskip(SKIP_1) | instid1(VALU_DEP_1)
	v_add_co_ci_u32_e64 v3, null, s21, 0, s14
	v_add_co_u32 v4, s14, s22, v1
	v_add_co_ci_u32_e64 v5, null, s23, 0, s14
	v_add_co_u32 v0, s14, s2, v0
	s_delay_alu instid0(VALU_DEP_1)
	v_add_co_ci_u32_e64 v1, null, s3, 0, s14
	s_ashr_i32 s19, s18, 31
	s_ashr_i32 s29, s17, 31
	s_mov_b32 s28, s17
	s_lshl_b64 s[14:15], s[18:19], 2
	s_lshl_b64 s[28:29], s[28:29], 2
	s_mov_b32 s19, s16
.LBB6_30:                               ; =>This Inner Loop Header: Depth=1
	global_load_b32 v9, v[4:5], off
	global_load_b32 v10, v[0:1], off
	v_add_co_u32 v0, vcc_lo, v0, s14
	v_add_co_ci_u32_e32 v1, vcc_lo, s15, v1, vcc_lo
	v_add_co_u32 v4, vcc_lo, v4, s28
	v_add_co_ci_u32_e32 v5, vcc_lo, s29, v5, vcc_lo
	s_add_i32 s19, s19, -1
	s_delay_alu instid0(SALU_CYCLE_1)
	s_cmp_lg_u32 s19, 0
	s_waitcnt vmcnt(0)
	v_fmac_f32_e32 v8, v9, v10
	global_store_b32 v[2:3], v8, off
	s_cbranch_scc1 .LBB6_30
.LBB6_31:
	v_add_nc_u32_e32 v6, 0x100, v6
	s_or_b32 exec_lo, exec_lo, s34
	s_delay_alu instid0(SALU_CYCLE_1) | instskip(NEXT) | instid1(VALU_DEP_1)
	s_mov_b32 s34, exec_lo
	v_cmpx_gt_i32_e64 s31, v6
	s_cbranch_execz .LBB6_3
.LBB6_32:
	v_cmp_ne_u32_e32 vcc_lo, 1, v7
	s_cbranch_vccnz .LBB6_38
; %bb.33:
	v_dual_mov_b32 v2, 0 :: v_dual_mov_b32 v1, 0
	v_mov_b32_e32 v0, 0
	s_and_not1_b32 vcc_lo, exec_lo, s33
	s_mov_b32 s19, 0
	s_cbranch_vccnz .LBB6_39
; %bb.34:
	s_add_i32 s14, s30, 1
	v_dual_mov_b32 v0, 0 :: v_dual_mov_b32 v1, 0
	v_dual_mov_b32 v2, 0 :: v_dual_mov_b32 v3, v6
	s_and_b32 s28, s14, 30
	s_add_u32 s14, s0, 0xffffffec
	s_addc_u32 s15, s1, -1
	s_set_inst_prefetch_distance 0x1
	.p2align	6
.LBB6_35:                               ; =>This Inner Loop Header: Depth=1
	s_clause 0x2
	s_load_b128 s[36:39], s[14:15], 0x18
	s_load_b64 s[44:45], s[14:15], 0x28
	s_load_b128 s[40:43], s[14:15], 0xd8
	s_waitcnt lgkmcnt(0)
	v_mul_hi_u32 v4, s37, v3
	s_delay_alu instid0(VALU_DEP_1) | instskip(NEXT) | instid1(VALU_DEP_1)
	v_add_nc_u32_e32 v4, v3, v4
	v_lshrrev_b32_e32 v4, s38, v4
	s_delay_alu instid0(VALU_DEP_1)
	v_mul_hi_u32 v5, s44, v4
	v_mul_lo_u32 v8, v4, s36
	s_load_b64 s[36:37], s[14:15], 0xe8
	s_add_u32 s14, s14, 24
	s_addc_u32 s15, s15, 0
	s_add_i32 s28, s28, -2
	s_delay_alu instid0(SALU_CYCLE_1) | instskip(NEXT) | instid1(VALU_DEP_2)
	s_cmp_eq_u32 s28, 0
	v_add_nc_u32_e32 v5, v4, v5
	s_delay_alu instid0(VALU_DEP_2) | instskip(NEXT) | instid1(VALU_DEP_2)
	v_sub_nc_u32_e32 v8, v3, v8
	v_lshrrev_b32_e32 v3, s45, v5
	s_delay_alu instid0(VALU_DEP_2) | instskip(NEXT) | instid1(VALU_DEP_2)
	v_mul_lo_u32 v9, v8, s40
	v_mul_lo_u32 v5, v3, s39
	s_delay_alu instid0(VALU_DEP_1) | instskip(SKIP_2) | instid1(VALU_DEP_3)
	v_sub_nc_u32_e32 v4, v4, v5
	v_mul_lo_u32 v5, v8, s41
	v_mul_lo_u32 v8, v8, s42
	;; [unrolled: 1-line block ×3, first 2 shown]
	s_waitcnt lgkmcnt(0)
	v_mul_lo_u32 v11, v4, s36
	v_mul_lo_u32 v4, v4, s37
	s_delay_alu instid0(VALU_DEP_3) | instskip(NEXT) | instid1(VALU_DEP_3)
	v_add3_u32 v2, v9, v2, v10
	v_add3_u32 v1, v5, v1, v11
	s_delay_alu instid0(VALU_DEP_3)
	v_add3_u32 v0, v8, v0, v4
	s_cbranch_scc0 .LBB6_35
; %bb.36:
	s_set_inst_prefetch_distance 0x2
	s_bitcmp1_b32 s30, 0
	s_cselect_b32 s28, -1, 0
	s_delay_alu instid0(SALU_CYCLE_1)
	s_and_b32 vcc_lo, exec_lo, s28
	s_cbranch_vccnz .LBB6_39
; %bb.37:
	s_clause 0x3
	s_load_b64 s[28:29], s[14:15], 0x18
	s_load_b32 s35, s[14:15], 0x20
	s_load_b64 s[36:37], s[14:15], 0xd8
	s_load_b32 s14, s[14:15], 0xe0
	s_waitcnt lgkmcnt(0)
	v_mul_hi_u32 v4, s29, v3
	s_delay_alu instid0(VALU_DEP_1) | instskip(NEXT) | instid1(VALU_DEP_1)
	v_add_nc_u32_e32 v4, v3, v4
	v_lshrrev_b32_e32 v4, s35, v4
	s_delay_alu instid0(VALU_DEP_1) | instskip(NEXT) | instid1(VALU_DEP_1)
	v_mul_lo_u32 v4, v4, s28
	v_sub_nc_u32_e32 v10, v3, v4
	s_delay_alu instid0(VALU_DEP_1) | instskip(SKIP_2) | instid1(VALU_DEP_2)
	v_mad_u64_u32 v[3:4], null, v10, s36, v[2:3]
	v_mad_u64_u32 v[4:5], null, v10, s37, v[1:2]
	;; [unrolled: 1-line block ×3, first 2 shown]
	v_dual_mov_b32 v2, v3 :: v_dual_mov_b32 v1, v4
	s_delay_alu instid0(VALU_DEP_2)
	v_mov_b32_e32 v0, v8
	s_branch .LBB6_39
.LBB6_38:
	s_mov_b32 s19, -1
                                        ; implicit-def: $vgpr2
                                        ; implicit-def: $vgpr1
                                        ; implicit-def: $vgpr0
.LBB6_39:
	s_delay_alu instid0(SALU_CYCLE_1)
	s_and_not1_b32 vcc_lo, exec_lo, s19
	s_cbranch_vccnz .LBB6_42
; %bb.40:
	v_mul_hi_u32 v0, s6, v6
	s_and_not1_b32 vcc_lo, exec_lo, s11
	s_delay_alu instid0(VALU_DEP_1) | instskip(NEXT) | instid1(VALU_DEP_1)
	v_add_nc_u32_e32 v0, v6, v0
	v_lshrrev_b32_e32 v3, s7, v0
	s_delay_alu instid0(VALU_DEP_1) | instskip(NEXT) | instid1(VALU_DEP_1)
	v_mul_lo_u32 v0, v3, s5
	v_sub_nc_u32_e32 v0, v6, v0
	s_delay_alu instid0(VALU_DEP_1)
	v_mul_lo_u32 v2, v0, s24
	v_mul_lo_u32 v1, v0, s25
	;; [unrolled: 1-line block ×3, first 2 shown]
	s_cbranch_vccnz .LBB6_42
; %bb.41:
	v_mul_hi_u32 v4, s9, v3
	s_delay_alu instid0(VALU_DEP_1) | instskip(NEXT) | instid1(VALU_DEP_1)
	v_add_nc_u32_e32 v4, v3, v4
	v_lshrrev_b32_e32 v4, s10, v4
	s_delay_alu instid0(VALU_DEP_1) | instskip(NEXT) | instid1(VALU_DEP_1)
	v_mul_lo_u32 v4, v4, s8
	v_sub_nc_u32_e32 v10, v3, v4
	s_delay_alu instid0(VALU_DEP_1) | instskip(SKIP_2) | instid1(VALU_DEP_2)
	v_mad_u64_u32 v[3:4], null, v10, s27, v[2:3]
	v_mad_u64_u32 v[4:5], null, v10, s12, v[1:2]
	;; [unrolled: 1-line block ×3, first 2 shown]
	v_dual_mov_b32 v2, v3 :: v_dual_mov_b32 v1, v4
	s_delay_alu instid0(VALU_DEP_2)
	v_mov_b32_e32 v0, v8
.LBB6_42:
	s_and_not1_b32 vcc_lo, exec_lo, s4
	s_cbranch_vccnz .LBB6_45
; %bb.43:
	global_load_b32 v8, v2, s[20:21]
	v_add_co_u32 v2, s14, s20, v2
	s_delay_alu instid0(VALU_DEP_1) | instskip(SKIP_1) | instid1(VALU_DEP_1)
	v_add_co_ci_u32_e64 v3, null, s21, 0, s14
	v_add_co_u32 v4, s14, s22, v1
	v_add_co_ci_u32_e64 v5, null, s23, 0, s14
	v_add_co_u32 v0, s14, s2, v0
	s_delay_alu instid0(VALU_DEP_1)
	v_add_co_ci_u32_e64 v1, null, s3, 0, s14
	s_ashr_i32 s19, s18, 31
	s_ashr_i32 s29, s17, 31
	s_mov_b32 s28, s17
	s_lshl_b64 s[14:15], s[18:19], 2
	s_lshl_b64 s[28:29], s[28:29], 2
	s_mov_b32 s19, s16
.LBB6_44:                               ; =>This Inner Loop Header: Depth=1
	global_load_b32 v9, v[4:5], off
	global_load_b32 v10, v[0:1], off
	v_add_co_u32 v0, vcc_lo, v0, s14
	v_add_co_ci_u32_e32 v1, vcc_lo, s15, v1, vcc_lo
	v_add_co_u32 v4, vcc_lo, v4, s28
	v_add_co_ci_u32_e32 v5, vcc_lo, s29, v5, vcc_lo
	s_add_i32 s19, s19, -1
	s_delay_alu instid0(SALU_CYCLE_1)
	s_cmp_lg_u32 s19, 0
	s_waitcnt vmcnt(0)
	v_fmac_f32_e32 v8, v9, v10
	global_store_b32 v[2:3], v8, off
	s_cbranch_scc1 .LBB6_44
.LBB6_45:
	v_add_nc_u32_e32 v6, 0x100, v6
	s_or_b32 exec_lo, exec_lo, s34
	s_delay_alu instid0(SALU_CYCLE_1) | instskip(NEXT) | instid1(VALU_DEP_1)
	s_mov_b32 s14, exec_lo
	v_cmpx_gt_i32_e64 s31, v6
	s_cbranch_execz .LBB6_59
.LBB6_46:
	v_cmp_ne_u32_e32 vcc_lo, 1, v7
	s_cbranch_vccnz .LBB6_52
; %bb.47:
	v_dual_mov_b32 v2, 0 :: v_dual_mov_b32 v1, 0
	v_mov_b32_e32 v0, 0
	s_and_not1_b32 vcc_lo, exec_lo, s33
	s_mov_b32 s14, 0
	s_cbranch_vccnz .LBB6_53
; %bb.48:
	s_add_i32 s15, s30, 1
	v_dual_mov_b32 v0, 0 :: v_dual_mov_b32 v1, 0
	v_dual_mov_b32 v2, 0 :: v_dual_mov_b32 v3, v6
	s_and_b32 s15, s15, 30
	s_add_u32 s0, s0, 0xffffffec
	s_addc_u32 s1, s1, -1
	s_set_inst_prefetch_distance 0x1
	.p2align	6
.LBB6_49:                               ; =>This Inner Loop Header: Depth=1
	s_clause 0x3
	s_load_b128 s[36:39], s[0:1], 0x18
	s_load_b64 s[28:29], s[0:1], 0x28
	s_load_b128 s[40:43], s[0:1], 0xd8
	s_load_b64 s[34:35], s[0:1], 0xe8
	s_add_u32 s0, s0, 24
	s_addc_u32 s1, s1, 0
	s_add_i32 s15, s15, -2
	s_delay_alu instid0(SALU_CYCLE_1) | instskip(SKIP_2) | instid1(VALU_DEP_1)
	s_cmp_eq_u32 s15, 0
	s_waitcnt lgkmcnt(0)
	v_mul_hi_u32 v4, s37, v3
	v_add_nc_u32_e32 v4, v3, v4
	s_delay_alu instid0(VALU_DEP_1) | instskip(NEXT) | instid1(VALU_DEP_1)
	v_lshrrev_b32_e32 v4, s38, v4
	v_mul_hi_u32 v5, s28, v4
	v_mul_lo_u32 v7, v4, s36
	s_delay_alu instid0(VALU_DEP_2) | instskip(NEXT) | instid1(VALU_DEP_2)
	v_add_nc_u32_e32 v5, v4, v5
	v_sub_nc_u32_e32 v7, v3, v7
	s_delay_alu instid0(VALU_DEP_2) | instskip(NEXT) | instid1(VALU_DEP_2)
	v_lshrrev_b32_e32 v3, s29, v5
	v_mul_lo_u32 v8, v7, s40
	s_delay_alu instid0(VALU_DEP_2) | instskip(NEXT) | instid1(VALU_DEP_1)
	v_mul_lo_u32 v5, v3, s39
	v_sub_nc_u32_e32 v4, v4, v5
	v_mul_lo_u32 v5, v7, s41
	v_mul_lo_u32 v7, v7, s42
	s_delay_alu instid0(VALU_DEP_3) | instskip(SKIP_2) | instid1(VALU_DEP_3)
	v_mul_lo_u32 v9, v4, s43
	v_mul_lo_u32 v10, v4, s34
	;; [unrolled: 1-line block ×3, first 2 shown]
	v_add3_u32 v2, v8, v2, v9
	s_delay_alu instid0(VALU_DEP_3) | instskip(NEXT) | instid1(VALU_DEP_3)
	v_add3_u32 v1, v5, v1, v10
	v_add3_u32 v0, v7, v0, v4
	s_cbranch_scc0 .LBB6_49
; %bb.50:
	s_set_inst_prefetch_distance 0x2
	s_bitcmp1_b32 s30, 0
	s_cselect_b32 s15, -1, 0
	s_delay_alu instid0(SALU_CYCLE_1)
	s_and_b32 vcc_lo, exec_lo, s15
	s_cbranch_vccnz .LBB6_53
; %bb.51:
	s_clause 0x3
	s_load_b64 s[28:29], s[0:1], 0x18
	s_load_b32 s15, s[0:1], 0x20
	s_load_b64 s[30:31], s[0:1], 0xd8
	s_load_b32 s0, s[0:1], 0xe0
	s_waitcnt lgkmcnt(0)
	v_mul_hi_u32 v4, s29, v3
	s_delay_alu instid0(VALU_DEP_1) | instskip(NEXT) | instid1(VALU_DEP_1)
	v_add_nc_u32_e32 v4, v3, v4
	v_lshrrev_b32_e32 v4, s15, v4
	s_delay_alu instid0(VALU_DEP_1) | instskip(NEXT) | instid1(VALU_DEP_1)
	v_mul_lo_u32 v4, v4, s28
	v_sub_nc_u32_e32 v9, v3, v4
	s_delay_alu instid0(VALU_DEP_1) | instskip(SKIP_2) | instid1(VALU_DEP_2)
	v_mad_u64_u32 v[3:4], null, v9, s30, v[2:3]
	v_mad_u64_u32 v[4:5], null, v9, s31, v[1:2]
	;; [unrolled: 1-line block ×3, first 2 shown]
	v_dual_mov_b32 v2, v3 :: v_dual_mov_b32 v1, v4
	s_delay_alu instid0(VALU_DEP_2)
	v_mov_b32_e32 v0, v7
	s_branch .LBB6_53
.LBB6_52:
	s_mov_b32 s14, -1
                                        ; implicit-def: $vgpr2
                                        ; implicit-def: $vgpr1
                                        ; implicit-def: $vgpr0
.LBB6_53:
	s_delay_alu instid0(SALU_CYCLE_1)
	s_and_not1_b32 vcc_lo, exec_lo, s14
	s_cbranch_vccnz .LBB6_56
; %bb.54:
	v_mul_hi_u32 v0, s6, v6
	s_and_not1_b32 vcc_lo, exec_lo, s11
	s_delay_alu instid0(VALU_DEP_1) | instskip(NEXT) | instid1(VALU_DEP_1)
	v_add_nc_u32_e32 v0, v6, v0
	v_lshrrev_b32_e32 v3, s7, v0
	s_delay_alu instid0(VALU_DEP_1) | instskip(NEXT) | instid1(VALU_DEP_1)
	v_mul_lo_u32 v0, v3, s5
	v_sub_nc_u32_e32 v0, v6, v0
	s_delay_alu instid0(VALU_DEP_1)
	v_mul_lo_u32 v2, v0, s24
	v_mul_lo_u32 v1, v0, s25
	;; [unrolled: 1-line block ×3, first 2 shown]
	s_cbranch_vccnz .LBB6_56
; %bb.55:
	v_mul_hi_u32 v4, s9, v3
	s_delay_alu instid0(VALU_DEP_1) | instskip(NEXT) | instid1(VALU_DEP_1)
	v_add_nc_u32_e32 v4, v3, v4
	v_lshrrev_b32_e32 v4, s10, v4
	s_delay_alu instid0(VALU_DEP_1) | instskip(NEXT) | instid1(VALU_DEP_1)
	v_mul_lo_u32 v4, v4, s8
	v_sub_nc_u32_e32 v7, v3, v4
	s_delay_alu instid0(VALU_DEP_1) | instskip(SKIP_2) | instid1(VALU_DEP_2)
	v_mad_u64_u32 v[3:4], null, v7, s27, v[2:3]
	v_mad_u64_u32 v[4:5], null, v7, s12, v[1:2]
	;; [unrolled: 1-line block ×3, first 2 shown]
	v_dual_mov_b32 v2, v3 :: v_dual_mov_b32 v1, v4
	s_delay_alu instid0(VALU_DEP_2)
	v_mov_b32_e32 v0, v5
.LBB6_56:
	s_and_not1_b32 vcc_lo, exec_lo, s4
	s_cbranch_vccnz .LBB6_59
; %bb.57:
	global_load_b32 v6, v2, s[20:21]
	v_add_co_u32 v2, s0, s20, v2
	s_delay_alu instid0(VALU_DEP_1) | instskip(SKIP_1) | instid1(VALU_DEP_1)
	v_add_co_ci_u32_e64 v3, null, s21, 0, s0
	v_add_co_u32 v4, s0, s22, v1
	v_add_co_ci_u32_e64 v5, null, s23, 0, s0
	v_add_co_u32 v0, s0, s2, v0
	s_delay_alu instid0(VALU_DEP_1)
	v_add_co_ci_u32_e64 v1, null, s3, 0, s0
	s_ashr_i32 s19, s18, 31
	s_ashr_i32 s3, s17, 31
	s_mov_b32 s2, s17
	s_lshl_b64 s[0:1], s[18:19], 2
	s_lshl_b64 s[2:3], s[2:3], 2
.LBB6_58:                               ; =>This Inner Loop Header: Depth=1
	global_load_b32 v7, v[4:5], off
	global_load_b32 v8, v[0:1], off
	v_add_co_u32 v0, vcc_lo, v0, s0
	v_add_co_ci_u32_e32 v1, vcc_lo, s1, v1, vcc_lo
	v_add_co_u32 v4, vcc_lo, v4, s2
	v_add_co_ci_u32_e32 v5, vcc_lo, s3, v5, vcc_lo
	s_add_i32 s16, s16, -1
	s_delay_alu instid0(SALU_CYCLE_1)
	s_cmp_lg_u32 s16, 0
	s_waitcnt vmcnt(0)
	v_fmac_f32_e32 v6, v7, v8
	global_store_b32 v[2:3], v6, off
	s_cbranch_scc1 .LBB6_58
.LBB6_59:
	s_nop 0
	s_sendmsg sendmsg(MSG_DEALLOC_VGPRS)
	s_endpgm
	.section	.rodata,"a",@progbits
	.p2align	6, 0x0
	.amdhsa_kernel _ZN2at6native12_GLOBAL__N_116_elemwise_kernelILi256ELi4EZNS1_43_compute_linear_combination_internal_kernelIfEEvRNS_14TensorIteratorEiiiEUliE_EEviT1_
		.amdhsa_group_segment_fixed_size 0
		.amdhsa_private_segment_fixed_size 0
		.amdhsa_kernarg_size 440
		.amdhsa_user_sgpr_count 15
		.amdhsa_user_sgpr_dispatch_ptr 0
		.amdhsa_user_sgpr_queue_ptr 0
		.amdhsa_user_sgpr_kernarg_segment_ptr 1
		.amdhsa_user_sgpr_dispatch_id 0
		.amdhsa_user_sgpr_private_segment_size 0
		.amdhsa_wavefront_size32 1
		.amdhsa_uses_dynamic_stack 0
		.amdhsa_enable_private_segment 0
		.amdhsa_system_sgpr_workgroup_id_x 1
		.amdhsa_system_sgpr_workgroup_id_y 0
		.amdhsa_system_sgpr_workgroup_id_z 0
		.amdhsa_system_sgpr_workgroup_info 0
		.amdhsa_system_vgpr_workitem_id 0
		.amdhsa_next_free_vgpr 12
		.amdhsa_next_free_sgpr 46
		.amdhsa_reserve_vcc 1
		.amdhsa_float_round_mode_32 0
		.amdhsa_float_round_mode_16_64 0
		.amdhsa_float_denorm_mode_32 3
		.amdhsa_float_denorm_mode_16_64 3
		.amdhsa_dx10_clamp 1
		.amdhsa_ieee_mode 1
		.amdhsa_fp16_overflow 0
		.amdhsa_workgroup_processor_mode 1
		.amdhsa_memory_ordered 1
		.amdhsa_forward_progress 0
		.amdhsa_shared_vgpr_count 0
		.amdhsa_exception_fp_ieee_invalid_op 0
		.amdhsa_exception_fp_denorm_src 0
		.amdhsa_exception_fp_ieee_div_zero 0
		.amdhsa_exception_fp_ieee_overflow 0
		.amdhsa_exception_fp_ieee_underflow 0
		.amdhsa_exception_fp_ieee_inexact 0
		.amdhsa_exception_int_div_zero 0
	.end_amdhsa_kernel
	.section	.text._ZN2at6native12_GLOBAL__N_116_elemwise_kernelILi256ELi4EZNS1_43_compute_linear_combination_internal_kernelIfEEvRNS_14TensorIteratorEiiiEUliE_EEviT1_,"axG",@progbits,_ZN2at6native12_GLOBAL__N_116_elemwise_kernelILi256ELi4EZNS1_43_compute_linear_combination_internal_kernelIfEEvRNS_14TensorIteratorEiiiEUliE_EEviT1_,comdat
.Lfunc_end6:
	.size	_ZN2at6native12_GLOBAL__N_116_elemwise_kernelILi256ELi4EZNS1_43_compute_linear_combination_internal_kernelIfEEvRNS_14TensorIteratorEiiiEUliE_EEviT1_, .Lfunc_end6-_ZN2at6native12_GLOBAL__N_116_elemwise_kernelILi256ELi4EZNS1_43_compute_linear_combination_internal_kernelIfEEvRNS_14TensorIteratorEiiiEUliE_EEviT1_
                                        ; -- End function
	.section	.AMDGPU.csdata,"",@progbits
; Kernel info:
; codeLenInByte = 3432
; NumSgprs: 48
; NumVgprs: 12
; ScratchSize: 0
; MemoryBound: 0
; FloatMode: 240
; IeeeMode: 1
; LDSByteSize: 0 bytes/workgroup (compile time only)
; SGPRBlocks: 5
; VGPRBlocks: 1
; NumSGPRsForWavesPerEU: 48
; NumVGPRsForWavesPerEU: 12
; Occupancy: 16
; WaveLimiterHint : 1
; COMPUTE_PGM_RSRC2:SCRATCH_EN: 0
; COMPUTE_PGM_RSRC2:USER_SGPR: 15
; COMPUTE_PGM_RSRC2:TRAP_HANDLER: 0
; COMPUTE_PGM_RSRC2:TGID_X_EN: 1
; COMPUTE_PGM_RSRC2:TGID_Y_EN: 0
; COMPUTE_PGM_RSRC2:TGID_Z_EN: 0
; COMPUTE_PGM_RSRC2:TIDIG_COMP_CNT: 0
	.section	.text._ZN2at6native12_GLOBAL__N_116_elemwise_kernelILi256ELi4EZNS1_43_compute_linear_combination_internal_kernelIN3c107complexIdEEEEvRNS_14TensorIteratorEiiiEUliE_EEviT1_,"axG",@progbits,_ZN2at6native12_GLOBAL__N_116_elemwise_kernelILi256ELi4EZNS1_43_compute_linear_combination_internal_kernelIN3c107complexIdEEEEvRNS_14TensorIteratorEiiiEUliE_EEviT1_,comdat
	.globl	_ZN2at6native12_GLOBAL__N_116_elemwise_kernelILi256ELi4EZNS1_43_compute_linear_combination_internal_kernelIN3c107complexIdEEEEvRNS_14TensorIteratorEiiiEUliE_EEviT1_ ; -- Begin function _ZN2at6native12_GLOBAL__N_116_elemwise_kernelILi256ELi4EZNS1_43_compute_linear_combination_internal_kernelIN3c107complexIdEEEEvRNS_14TensorIteratorEiiiEUliE_EEviT1_
	.p2align	8
	.type	_ZN2at6native12_GLOBAL__N_116_elemwise_kernelILi256ELi4EZNS1_43_compute_linear_combination_internal_kernelIN3c107complexIdEEEEvRNS_14TensorIteratorEiiiEUliE_EEviT1_,@function
_ZN2at6native12_GLOBAL__N_116_elemwise_kernelILi256ELi4EZNS1_43_compute_linear_combination_internal_kernelIN3c107complexIdEEEEvRNS_14TensorIteratorEiiiEUliE_EEviT1_: ; @_ZN2at6native12_GLOBAL__N_116_elemwise_kernelILi256ELi4EZNS1_43_compute_linear_combination_internal_kernelIN3c107complexIdEEEEvRNS_14TensorIteratorEiiiEUliE_EEviT1_
; %bb.0:
	s_clause 0x6
	s_load_b256 s[4:11], s[0:1], 0x8
	s_load_b32 s31, s[0:1], 0x0
	s_load_b128 s[16:19], s[0:1], 0x1a8
	s_load_b128 s[24:27], s[0:1], 0xcc
	s_load_b64 s[12:13], s[0:1], 0xdc
	s_load_b64 s[2:3], s[0:1], 0x1a0
	s_load_b128 s[20:23], s[0:1], 0x190
	s_or_b32 s0, s0, 8
	v_lshl_or_b32 v10, s15, 10, v0
	s_waitcnt lgkmcnt(0)
	s_mov_b32 s19, -1
	s_mov_b32 s34, exec_lo
	s_add_i32 s11, s4, -1
	s_delay_alu instid0(SALU_CYCLE_1)
	s_cmp_gt_u32 s11, 1
	s_cselect_b32 s14, -1, 0
	s_cmp_lg_u32 s4, 0
	v_cndmask_b32_e64 v11, 0, 1, s14
	s_cselect_b32 s33, -1, 0
	s_min_u32 s30, s11, 15
	s_cmp_gt_u32 s4, 1
	s_cselect_b32 s11, -1, 0
	s_cmp_gt_i32 s16, 0
	s_cselect_b32 s4, -1, 0
	v_cmpx_gt_i32_e64 s31, v10
	s_cbranch_execnz .LBB7_4
; %bb.1:
	s_or_b32 exec_lo, exec_lo, s34
	s_delay_alu instid0(SALU_CYCLE_1)
	s_mov_b32 s34, exec_lo
	v_cmpx_gt_i32_e64 s31, v10
	s_cbranch_execnz .LBB7_18
.LBB7_2:
	s_or_b32 exec_lo, exec_lo, s34
	s_delay_alu instid0(SALU_CYCLE_1)
	s_mov_b32 s34, exec_lo
	v_cmpx_gt_i32_e64 s31, v10
	s_cbranch_execnz .LBB7_32
.LBB7_3:
	s_or_b32 exec_lo, exec_lo, s34
	s_delay_alu instid0(SALU_CYCLE_1)
	s_mov_b32 s14, exec_lo
	v_cmpx_gt_i32_e64 s31, v10
	s_cbranch_execnz .LBB7_46
	s_branch .LBB7_59
.LBB7_4:
	s_and_not1_b32 vcc_lo, exec_lo, s14
	s_cbranch_vccnz .LBB7_10
; %bb.5:
	v_dual_mov_b32 v6, 0 :: v_dual_mov_b32 v5, 0
	v_mov_b32_e32 v4, 0
	s_and_not1_b32 vcc_lo, exec_lo, s33
	s_mov_b32 s19, 0
	s_cbranch_vccnz .LBB7_11
; %bb.6:
	s_add_i32 s14, s30, 1
	v_dual_mov_b32 v5, 0 :: v_dual_mov_b32 v4, 0
	v_mov_b32_e32 v6, 0
	v_mov_b32_e32 v0, v10
	s_and_b32 s28, s14, 30
	s_add_u32 s14, s0, 0xffffffec
	s_addc_u32 s15, s1, -1
	s_set_inst_prefetch_distance 0x1
	.p2align	6
.LBB7_7:                                ; =>This Inner Loop Header: Depth=1
	s_clause 0x2
	s_load_b128 s[36:39], s[14:15], 0x18
	s_load_b64 s[44:45], s[14:15], 0x28
	s_load_b128 s[40:43], s[14:15], 0xd8
	s_waitcnt lgkmcnt(0)
	v_mul_hi_u32 v1, s37, v0
	s_delay_alu instid0(VALU_DEP_1) | instskip(NEXT) | instid1(VALU_DEP_1)
	v_add_nc_u32_e32 v1, v0, v1
	v_lshrrev_b32_e32 v1, s38, v1
	s_delay_alu instid0(VALU_DEP_1)
	v_mul_hi_u32 v2, s44, v1
	v_mul_lo_u32 v3, v1, s36
	s_load_b64 s[36:37], s[14:15], 0xe8
	s_add_u32 s14, s14, 24
	s_addc_u32 s15, s15, 0
	s_add_i32 s28, s28, -2
	s_delay_alu instid0(SALU_CYCLE_1) | instskip(NEXT) | instid1(VALU_DEP_2)
	s_cmp_lg_u32 s28, 0
	v_add_nc_u32_e32 v2, v1, v2
	s_delay_alu instid0(VALU_DEP_2) | instskip(NEXT) | instid1(VALU_DEP_2)
	v_sub_nc_u32_e32 v3, v0, v3
	v_lshrrev_b32_e32 v0, s45, v2
	s_delay_alu instid0(VALU_DEP_2) | instskip(NEXT) | instid1(VALU_DEP_2)
	v_mul_lo_u32 v7, v3, s40
	v_mul_lo_u32 v2, v0, s39
	s_delay_alu instid0(VALU_DEP_1) | instskip(SKIP_2) | instid1(VALU_DEP_3)
	v_sub_nc_u32_e32 v1, v1, v2
	v_mul_lo_u32 v2, v3, s41
	v_mul_lo_u32 v3, v3, s42
	;; [unrolled: 1-line block ×3, first 2 shown]
	s_waitcnt lgkmcnt(0)
	v_mul_lo_u32 v9, v1, s36
	v_mul_lo_u32 v1, v1, s37
	s_delay_alu instid0(VALU_DEP_3) | instskip(NEXT) | instid1(VALU_DEP_3)
	v_add3_u32 v6, v7, v6, v8
	v_add3_u32 v4, v2, v4, v9
	s_delay_alu instid0(VALU_DEP_3)
	v_add3_u32 v5, v3, v5, v1
	s_cbranch_scc1 .LBB7_7
; %bb.8:
	s_set_inst_prefetch_distance 0x2
	s_bitcmp1_b32 s30, 0
	s_cselect_b32 s28, -1, 0
	s_delay_alu instid0(SALU_CYCLE_1)
	s_and_b32 vcc_lo, exec_lo, s28
	s_cbranch_vccnz .LBB7_11
; %bb.9:
	s_clause 0x3
	s_load_b64 s[28:29], s[14:15], 0x18
	s_load_b32 s35, s[14:15], 0x20
	s_load_b64 s[36:37], s[14:15], 0xd8
	s_load_b32 s14, s[14:15], 0xe0
	s_waitcnt lgkmcnt(0)
	v_mul_hi_u32 v1, s29, v0
	s_delay_alu instid0(VALU_DEP_1) | instskip(NEXT) | instid1(VALU_DEP_1)
	v_add_nc_u32_e32 v1, v0, v1
	v_lshrrev_b32_e32 v1, s35, v1
	s_delay_alu instid0(VALU_DEP_1) | instskip(NEXT) | instid1(VALU_DEP_1)
	v_mul_lo_u32 v1, v1, s28
	v_sub_nc_u32_e32 v7, v0, v1
	s_delay_alu instid0(VALU_DEP_1) | instskip(SKIP_2) | instid1(VALU_DEP_3)
	v_mad_u64_u32 v[0:1], null, v7, s36, v[6:7]
	v_mad_u64_u32 v[1:2], null, v7, s37, v[4:5]
	;; [unrolled: 1-line block ×3, first 2 shown]
	v_mov_b32_e32 v6, v0
	s_delay_alu instid0(VALU_DEP_2)
	v_dual_mov_b32 v4, v1 :: v_dual_mov_b32 v5, v2
	s_branch .LBB7_11
.LBB7_10:
                                        ; implicit-def: $vgpr6
                                        ; implicit-def: $vgpr4
                                        ; implicit-def: $vgpr5
.LBB7_11:
	s_and_not1_b32 vcc_lo, exec_lo, s19
	s_cbranch_vccnz .LBB7_14
; %bb.12:
	v_mul_hi_u32 v0, s6, v10
	s_and_not1_b32 vcc_lo, exec_lo, s11
	s_delay_alu instid0(VALU_DEP_1) | instskip(NEXT) | instid1(VALU_DEP_1)
	v_add_nc_u32_e32 v0, v10, v0
	v_lshrrev_b32_e32 v0, s7, v0
	s_delay_alu instid0(VALU_DEP_1) | instskip(NEXT) | instid1(VALU_DEP_1)
	v_mul_lo_u32 v1, v0, s5
	v_sub_nc_u32_e32 v1, v10, v1
	s_delay_alu instid0(VALU_DEP_1)
	v_mul_lo_u32 v6, v1, s24
	v_mul_lo_u32 v4, v1, s25
	;; [unrolled: 1-line block ×3, first 2 shown]
	s_cbranch_vccnz .LBB7_14
; %bb.13:
	v_mul_hi_u32 v1, s9, v0
	s_delay_alu instid0(VALU_DEP_1) | instskip(NEXT) | instid1(VALU_DEP_1)
	v_add_nc_u32_e32 v1, v0, v1
	v_lshrrev_b32_e32 v1, s10, v1
	s_delay_alu instid0(VALU_DEP_1) | instskip(NEXT) | instid1(VALU_DEP_1)
	v_mul_lo_u32 v1, v1, s8
	v_sub_nc_u32_e32 v7, v0, v1
	s_delay_alu instid0(VALU_DEP_1) | instskip(SKIP_2) | instid1(VALU_DEP_3)
	v_mad_u64_u32 v[0:1], null, v7, s27, v[6:7]
	v_mad_u64_u32 v[1:2], null, v7, s12, v[4:5]
	;; [unrolled: 1-line block ×3, first 2 shown]
	v_mov_b32_e32 v6, v0
	s_delay_alu instid0(VALU_DEP_2)
	v_dual_mov_b32 v4, v1 :: v_dual_mov_b32 v5, v2
.LBB7_14:
	s_and_not1_b32 vcc_lo, exec_lo, s4
	s_cbranch_vccnz .LBB7_17
; %bb.15:
	global_load_b128 v[0:3], v6, s[20:21]
	v_add_co_u32 v6, s14, s20, v6
	s_delay_alu instid0(VALU_DEP_1) | instskip(SKIP_1) | instid1(VALU_DEP_1)
	v_add_co_ci_u32_e64 v7, null, s21, 0, s14
	v_add_co_u32 v8, s14, s2, v5
	v_add_co_ci_u32_e64 v9, null, s3, 0, s14
	v_add_co_u32 v4, s14, v4, s22
	s_delay_alu instid0(VALU_DEP_1) | instskip(SKIP_1) | instid1(VALU_DEP_2)
	v_add_co_ci_u32_e64 v5, null, 0, s23, s14
	s_ashr_i32 s19, s18, 31
	v_add_co_u32 v4, vcc_lo, v4, 8
	s_delay_alu instid0(VALU_DEP_2)
	v_add_co_ci_u32_e32 v5, vcc_lo, 0, v5, vcc_lo
	s_ashr_i32 s29, s17, 31
	s_mov_b32 s28, s17
	s_lshl_b64 s[14:15], s[18:19], 3
	s_lshl_b64 s[28:29], s[28:29], 4
	s_mov_b32 s19, s16
	.p2align	6
.LBB7_16:                               ; =>This Inner Loop Header: Depth=1
	global_load_b64 v[16:17], v[8:9], off
	global_load_b128 v[12:15], v[4:5], off offset:-8
	v_add_co_u32 v8, vcc_lo, v8, s14
	v_add_co_ci_u32_e32 v9, vcc_lo, s15, v9, vcc_lo
	v_add_co_u32 v4, vcc_lo, v4, s28
	v_add_co_ci_u32_e32 v5, vcc_lo, s29, v5, vcc_lo
	s_add_i32 s19, s19, -1
	s_delay_alu instid0(SALU_CYCLE_1)
	s_cmp_lg_u32 s19, 0
	s_waitcnt vmcnt(0)
	v_fma_f64 v[0:1], v[16:17], v[12:13], v[0:1]
	v_fma_f64 v[2:3], v[16:17], v[14:15], v[2:3]
	global_store_b128 v[6:7], v[0:3], off
	s_cbranch_scc1 .LBB7_16
.LBB7_17:
	v_add_nc_u32_e32 v10, 0x100, v10
	s_or_b32 exec_lo, exec_lo, s34
	s_delay_alu instid0(SALU_CYCLE_1) | instskip(NEXT) | instid1(VALU_DEP_1)
	s_mov_b32 s34, exec_lo
	v_cmpx_gt_i32_e64 s31, v10
	s_cbranch_execz .LBB7_2
.LBB7_18:
	v_cmp_ne_u32_e32 vcc_lo, 1, v11
	s_cbranch_vccnz .LBB7_24
; %bb.19:
	v_dual_mov_b32 v6, 0 :: v_dual_mov_b32 v5, 0
	v_mov_b32_e32 v4, 0
	s_and_not1_b32 vcc_lo, exec_lo, s33
	s_mov_b32 s19, 0
	s_cbranch_vccnz .LBB7_25
; %bb.20:
	s_add_i32 s14, s30, 1
	v_dual_mov_b32 v5, 0 :: v_dual_mov_b32 v4, 0
	v_mov_b32_e32 v6, 0
	v_mov_b32_e32 v0, v10
	s_and_b32 s28, s14, 30
	s_add_u32 s14, s0, 0xffffffec
	s_addc_u32 s15, s1, -1
	s_set_inst_prefetch_distance 0x1
	.p2align	6
.LBB7_21:                               ; =>This Inner Loop Header: Depth=1
	s_clause 0x2
	s_load_b128 s[36:39], s[14:15], 0x18
	s_load_b64 s[44:45], s[14:15], 0x28
	s_load_b128 s[40:43], s[14:15], 0xd8
	s_waitcnt lgkmcnt(0)
	v_mul_hi_u32 v1, s37, v0
	s_delay_alu instid0(VALU_DEP_1) | instskip(NEXT) | instid1(VALU_DEP_1)
	v_add_nc_u32_e32 v1, v0, v1
	v_lshrrev_b32_e32 v1, s38, v1
	s_delay_alu instid0(VALU_DEP_1)
	v_mul_hi_u32 v2, s44, v1
	v_mul_lo_u32 v3, v1, s36
	s_load_b64 s[36:37], s[14:15], 0xe8
	s_add_u32 s14, s14, 24
	s_addc_u32 s15, s15, 0
	s_add_i32 s28, s28, -2
	s_delay_alu instid0(SALU_CYCLE_1) | instskip(NEXT) | instid1(VALU_DEP_2)
	s_cmp_eq_u32 s28, 0
	v_add_nc_u32_e32 v2, v1, v2
	s_delay_alu instid0(VALU_DEP_2) | instskip(NEXT) | instid1(VALU_DEP_2)
	v_sub_nc_u32_e32 v3, v0, v3
	v_lshrrev_b32_e32 v0, s45, v2
	s_delay_alu instid0(VALU_DEP_2) | instskip(NEXT) | instid1(VALU_DEP_2)
	v_mul_lo_u32 v7, v3, s40
	v_mul_lo_u32 v2, v0, s39
	s_delay_alu instid0(VALU_DEP_1) | instskip(SKIP_2) | instid1(VALU_DEP_3)
	v_sub_nc_u32_e32 v1, v1, v2
	v_mul_lo_u32 v2, v3, s41
	v_mul_lo_u32 v3, v3, s42
	;; [unrolled: 1-line block ×3, first 2 shown]
	s_waitcnt lgkmcnt(0)
	v_mul_lo_u32 v9, v1, s36
	v_mul_lo_u32 v1, v1, s37
	s_delay_alu instid0(VALU_DEP_3) | instskip(NEXT) | instid1(VALU_DEP_3)
	v_add3_u32 v6, v7, v6, v8
	v_add3_u32 v4, v2, v4, v9
	s_delay_alu instid0(VALU_DEP_3)
	v_add3_u32 v5, v3, v5, v1
	s_cbranch_scc0 .LBB7_21
; %bb.22:
	s_set_inst_prefetch_distance 0x2
	s_bitcmp1_b32 s30, 0
	s_cselect_b32 s28, -1, 0
	s_delay_alu instid0(SALU_CYCLE_1)
	s_and_b32 vcc_lo, exec_lo, s28
	s_cbranch_vccnz .LBB7_25
; %bb.23:
	s_clause 0x3
	s_load_b64 s[28:29], s[14:15], 0x18
	s_load_b32 s35, s[14:15], 0x20
	s_load_b64 s[36:37], s[14:15], 0xd8
	s_load_b32 s14, s[14:15], 0xe0
	s_waitcnt lgkmcnt(0)
	v_mul_hi_u32 v1, s29, v0
	s_delay_alu instid0(VALU_DEP_1) | instskip(NEXT) | instid1(VALU_DEP_1)
	v_add_nc_u32_e32 v1, v0, v1
	v_lshrrev_b32_e32 v1, s35, v1
	s_delay_alu instid0(VALU_DEP_1) | instskip(NEXT) | instid1(VALU_DEP_1)
	v_mul_lo_u32 v1, v1, s28
	v_sub_nc_u32_e32 v7, v0, v1
	s_delay_alu instid0(VALU_DEP_1) | instskip(SKIP_2) | instid1(VALU_DEP_3)
	v_mad_u64_u32 v[0:1], null, v7, s36, v[6:7]
	v_mad_u64_u32 v[1:2], null, v7, s37, v[4:5]
	;; [unrolled: 1-line block ×3, first 2 shown]
	v_mov_b32_e32 v6, v0
	s_delay_alu instid0(VALU_DEP_2)
	v_dual_mov_b32 v4, v1 :: v_dual_mov_b32 v5, v2
	s_branch .LBB7_25
.LBB7_24:
	s_mov_b32 s19, -1
                                        ; implicit-def: $vgpr6
                                        ; implicit-def: $vgpr4
                                        ; implicit-def: $vgpr5
.LBB7_25:
	s_delay_alu instid0(SALU_CYCLE_1)
	s_and_not1_b32 vcc_lo, exec_lo, s19
	s_cbranch_vccnz .LBB7_28
; %bb.26:
	v_mul_hi_u32 v0, s6, v10
	s_and_not1_b32 vcc_lo, exec_lo, s11
	s_delay_alu instid0(VALU_DEP_1) | instskip(NEXT) | instid1(VALU_DEP_1)
	v_add_nc_u32_e32 v0, v10, v0
	v_lshrrev_b32_e32 v0, s7, v0
	s_delay_alu instid0(VALU_DEP_1) | instskip(NEXT) | instid1(VALU_DEP_1)
	v_mul_lo_u32 v1, v0, s5
	v_sub_nc_u32_e32 v1, v10, v1
	s_delay_alu instid0(VALU_DEP_1)
	v_mul_lo_u32 v6, v1, s24
	v_mul_lo_u32 v4, v1, s25
	;; [unrolled: 1-line block ×3, first 2 shown]
	s_cbranch_vccnz .LBB7_28
; %bb.27:
	v_mul_hi_u32 v1, s9, v0
	s_delay_alu instid0(VALU_DEP_1) | instskip(NEXT) | instid1(VALU_DEP_1)
	v_add_nc_u32_e32 v1, v0, v1
	v_lshrrev_b32_e32 v1, s10, v1
	s_delay_alu instid0(VALU_DEP_1) | instskip(NEXT) | instid1(VALU_DEP_1)
	v_mul_lo_u32 v1, v1, s8
	v_sub_nc_u32_e32 v7, v0, v1
	s_delay_alu instid0(VALU_DEP_1) | instskip(SKIP_2) | instid1(VALU_DEP_3)
	v_mad_u64_u32 v[0:1], null, v7, s27, v[6:7]
	v_mad_u64_u32 v[1:2], null, v7, s12, v[4:5]
	;; [unrolled: 1-line block ×3, first 2 shown]
	v_mov_b32_e32 v6, v0
	s_delay_alu instid0(VALU_DEP_2)
	v_dual_mov_b32 v4, v1 :: v_dual_mov_b32 v5, v2
.LBB7_28:
	s_and_not1_b32 vcc_lo, exec_lo, s4
	s_cbranch_vccnz .LBB7_31
; %bb.29:
	global_load_b128 v[0:3], v6, s[20:21]
	v_add_co_u32 v6, s14, s20, v6
	s_delay_alu instid0(VALU_DEP_1) | instskip(SKIP_1) | instid1(VALU_DEP_1)
	v_add_co_ci_u32_e64 v7, null, s21, 0, s14
	v_add_co_u32 v8, s14, s2, v5
	v_add_co_ci_u32_e64 v9, null, s3, 0, s14
	v_add_co_u32 v4, s14, v4, s22
	s_delay_alu instid0(VALU_DEP_1) | instskip(SKIP_1) | instid1(VALU_DEP_2)
	v_add_co_ci_u32_e64 v5, null, 0, s23, s14
	s_ashr_i32 s19, s18, 31
	v_add_co_u32 v4, vcc_lo, v4, 8
	s_delay_alu instid0(VALU_DEP_2)
	v_add_co_ci_u32_e32 v5, vcc_lo, 0, v5, vcc_lo
	s_ashr_i32 s29, s17, 31
	s_mov_b32 s28, s17
	s_lshl_b64 s[14:15], s[18:19], 3
	s_lshl_b64 s[28:29], s[28:29], 4
	s_mov_b32 s19, s16
	.p2align	6
.LBB7_30:                               ; =>This Inner Loop Header: Depth=1
	global_load_b64 v[16:17], v[8:9], off
	global_load_b128 v[12:15], v[4:5], off offset:-8
	v_add_co_u32 v8, vcc_lo, v8, s14
	v_add_co_ci_u32_e32 v9, vcc_lo, s15, v9, vcc_lo
	v_add_co_u32 v4, vcc_lo, v4, s28
	v_add_co_ci_u32_e32 v5, vcc_lo, s29, v5, vcc_lo
	s_add_i32 s19, s19, -1
	s_delay_alu instid0(SALU_CYCLE_1)
	s_cmp_lg_u32 s19, 0
	s_waitcnt vmcnt(0)
	v_fma_f64 v[0:1], v[16:17], v[12:13], v[0:1]
	v_fma_f64 v[2:3], v[16:17], v[14:15], v[2:3]
	global_store_b128 v[6:7], v[0:3], off
	s_cbranch_scc1 .LBB7_30
.LBB7_31:
	v_add_nc_u32_e32 v10, 0x100, v10
	s_or_b32 exec_lo, exec_lo, s34
	s_delay_alu instid0(SALU_CYCLE_1) | instskip(NEXT) | instid1(VALU_DEP_1)
	s_mov_b32 s34, exec_lo
	v_cmpx_gt_i32_e64 s31, v10
	s_cbranch_execz .LBB7_3
.LBB7_32:
	v_cmp_ne_u32_e32 vcc_lo, 1, v11
	s_cbranch_vccnz .LBB7_38
; %bb.33:
	v_dual_mov_b32 v6, 0 :: v_dual_mov_b32 v5, 0
	v_mov_b32_e32 v4, 0
	s_and_not1_b32 vcc_lo, exec_lo, s33
	s_mov_b32 s19, 0
	s_cbranch_vccnz .LBB7_39
; %bb.34:
	s_add_i32 s14, s30, 1
	v_dual_mov_b32 v5, 0 :: v_dual_mov_b32 v4, 0
	v_mov_b32_e32 v6, 0
	v_mov_b32_e32 v0, v10
	s_and_b32 s28, s14, 30
	s_add_u32 s14, s0, 0xffffffec
	s_addc_u32 s15, s1, -1
	s_set_inst_prefetch_distance 0x1
	.p2align	6
.LBB7_35:                               ; =>This Inner Loop Header: Depth=1
	s_clause 0x2
	s_load_b128 s[36:39], s[14:15], 0x18
	s_load_b64 s[44:45], s[14:15], 0x28
	s_load_b128 s[40:43], s[14:15], 0xd8
	s_waitcnt lgkmcnt(0)
	v_mul_hi_u32 v1, s37, v0
	s_delay_alu instid0(VALU_DEP_1) | instskip(NEXT) | instid1(VALU_DEP_1)
	v_add_nc_u32_e32 v1, v0, v1
	v_lshrrev_b32_e32 v1, s38, v1
	s_delay_alu instid0(VALU_DEP_1)
	v_mul_hi_u32 v2, s44, v1
	v_mul_lo_u32 v3, v1, s36
	s_load_b64 s[36:37], s[14:15], 0xe8
	s_add_u32 s14, s14, 24
	s_addc_u32 s15, s15, 0
	s_add_i32 s28, s28, -2
	s_delay_alu instid0(SALU_CYCLE_1) | instskip(NEXT) | instid1(VALU_DEP_2)
	s_cmp_eq_u32 s28, 0
	v_add_nc_u32_e32 v2, v1, v2
	s_delay_alu instid0(VALU_DEP_2) | instskip(NEXT) | instid1(VALU_DEP_2)
	v_sub_nc_u32_e32 v3, v0, v3
	v_lshrrev_b32_e32 v0, s45, v2
	s_delay_alu instid0(VALU_DEP_2) | instskip(NEXT) | instid1(VALU_DEP_2)
	v_mul_lo_u32 v7, v3, s40
	v_mul_lo_u32 v2, v0, s39
	s_delay_alu instid0(VALU_DEP_1) | instskip(SKIP_2) | instid1(VALU_DEP_3)
	v_sub_nc_u32_e32 v1, v1, v2
	v_mul_lo_u32 v2, v3, s41
	v_mul_lo_u32 v3, v3, s42
	;; [unrolled: 1-line block ×3, first 2 shown]
	s_waitcnt lgkmcnt(0)
	v_mul_lo_u32 v9, v1, s36
	v_mul_lo_u32 v1, v1, s37
	s_delay_alu instid0(VALU_DEP_3) | instskip(NEXT) | instid1(VALU_DEP_3)
	v_add3_u32 v6, v7, v6, v8
	v_add3_u32 v4, v2, v4, v9
	s_delay_alu instid0(VALU_DEP_3)
	v_add3_u32 v5, v3, v5, v1
	s_cbranch_scc0 .LBB7_35
; %bb.36:
	s_set_inst_prefetch_distance 0x2
	s_bitcmp1_b32 s30, 0
	s_cselect_b32 s28, -1, 0
	s_delay_alu instid0(SALU_CYCLE_1)
	s_and_b32 vcc_lo, exec_lo, s28
	s_cbranch_vccnz .LBB7_39
; %bb.37:
	s_clause 0x3
	s_load_b64 s[28:29], s[14:15], 0x18
	s_load_b32 s35, s[14:15], 0x20
	s_load_b64 s[36:37], s[14:15], 0xd8
	s_load_b32 s14, s[14:15], 0xe0
	s_waitcnt lgkmcnt(0)
	v_mul_hi_u32 v1, s29, v0
	s_delay_alu instid0(VALU_DEP_1) | instskip(NEXT) | instid1(VALU_DEP_1)
	v_add_nc_u32_e32 v1, v0, v1
	v_lshrrev_b32_e32 v1, s35, v1
	s_delay_alu instid0(VALU_DEP_1) | instskip(NEXT) | instid1(VALU_DEP_1)
	v_mul_lo_u32 v1, v1, s28
	v_sub_nc_u32_e32 v7, v0, v1
	s_delay_alu instid0(VALU_DEP_1) | instskip(SKIP_2) | instid1(VALU_DEP_3)
	v_mad_u64_u32 v[0:1], null, v7, s36, v[6:7]
	v_mad_u64_u32 v[1:2], null, v7, s37, v[4:5]
	;; [unrolled: 1-line block ×3, first 2 shown]
	v_mov_b32_e32 v6, v0
	s_delay_alu instid0(VALU_DEP_2)
	v_dual_mov_b32 v4, v1 :: v_dual_mov_b32 v5, v2
	s_branch .LBB7_39
.LBB7_38:
	s_mov_b32 s19, -1
                                        ; implicit-def: $vgpr6
                                        ; implicit-def: $vgpr4
                                        ; implicit-def: $vgpr5
.LBB7_39:
	s_delay_alu instid0(SALU_CYCLE_1)
	s_and_not1_b32 vcc_lo, exec_lo, s19
	s_cbranch_vccnz .LBB7_42
; %bb.40:
	v_mul_hi_u32 v0, s6, v10
	s_and_not1_b32 vcc_lo, exec_lo, s11
	s_delay_alu instid0(VALU_DEP_1) | instskip(NEXT) | instid1(VALU_DEP_1)
	v_add_nc_u32_e32 v0, v10, v0
	v_lshrrev_b32_e32 v0, s7, v0
	s_delay_alu instid0(VALU_DEP_1) | instskip(NEXT) | instid1(VALU_DEP_1)
	v_mul_lo_u32 v1, v0, s5
	v_sub_nc_u32_e32 v1, v10, v1
	s_delay_alu instid0(VALU_DEP_1)
	v_mul_lo_u32 v6, v1, s24
	v_mul_lo_u32 v4, v1, s25
	;; [unrolled: 1-line block ×3, first 2 shown]
	s_cbranch_vccnz .LBB7_42
; %bb.41:
	v_mul_hi_u32 v1, s9, v0
	s_delay_alu instid0(VALU_DEP_1) | instskip(NEXT) | instid1(VALU_DEP_1)
	v_add_nc_u32_e32 v1, v0, v1
	v_lshrrev_b32_e32 v1, s10, v1
	s_delay_alu instid0(VALU_DEP_1) | instskip(NEXT) | instid1(VALU_DEP_1)
	v_mul_lo_u32 v1, v1, s8
	v_sub_nc_u32_e32 v7, v0, v1
	s_delay_alu instid0(VALU_DEP_1) | instskip(SKIP_2) | instid1(VALU_DEP_3)
	v_mad_u64_u32 v[0:1], null, v7, s27, v[6:7]
	v_mad_u64_u32 v[1:2], null, v7, s12, v[4:5]
	;; [unrolled: 1-line block ×3, first 2 shown]
	v_mov_b32_e32 v6, v0
	s_delay_alu instid0(VALU_DEP_2)
	v_dual_mov_b32 v4, v1 :: v_dual_mov_b32 v5, v2
.LBB7_42:
	s_and_not1_b32 vcc_lo, exec_lo, s4
	s_cbranch_vccnz .LBB7_45
; %bb.43:
	global_load_b128 v[0:3], v6, s[20:21]
	v_add_co_u32 v6, s14, s20, v6
	s_delay_alu instid0(VALU_DEP_1) | instskip(SKIP_1) | instid1(VALU_DEP_1)
	v_add_co_ci_u32_e64 v7, null, s21, 0, s14
	v_add_co_u32 v8, s14, s2, v5
	v_add_co_ci_u32_e64 v9, null, s3, 0, s14
	v_add_co_u32 v4, s14, v4, s22
	s_delay_alu instid0(VALU_DEP_1) | instskip(SKIP_1) | instid1(VALU_DEP_2)
	v_add_co_ci_u32_e64 v5, null, 0, s23, s14
	s_ashr_i32 s19, s18, 31
	v_add_co_u32 v4, vcc_lo, v4, 8
	s_delay_alu instid0(VALU_DEP_2)
	v_add_co_ci_u32_e32 v5, vcc_lo, 0, v5, vcc_lo
	s_ashr_i32 s29, s17, 31
	s_mov_b32 s28, s17
	s_lshl_b64 s[14:15], s[18:19], 3
	s_lshl_b64 s[28:29], s[28:29], 4
	s_mov_b32 s19, s16
	.p2align	6
.LBB7_44:                               ; =>This Inner Loop Header: Depth=1
	global_load_b64 v[16:17], v[8:9], off
	global_load_b128 v[12:15], v[4:5], off offset:-8
	v_add_co_u32 v8, vcc_lo, v8, s14
	v_add_co_ci_u32_e32 v9, vcc_lo, s15, v9, vcc_lo
	v_add_co_u32 v4, vcc_lo, v4, s28
	v_add_co_ci_u32_e32 v5, vcc_lo, s29, v5, vcc_lo
	s_add_i32 s19, s19, -1
	s_delay_alu instid0(SALU_CYCLE_1)
	s_cmp_lg_u32 s19, 0
	s_waitcnt vmcnt(0)
	v_fma_f64 v[0:1], v[16:17], v[12:13], v[0:1]
	v_fma_f64 v[2:3], v[16:17], v[14:15], v[2:3]
	global_store_b128 v[6:7], v[0:3], off
	s_cbranch_scc1 .LBB7_44
.LBB7_45:
	v_add_nc_u32_e32 v10, 0x100, v10
	s_or_b32 exec_lo, exec_lo, s34
	s_delay_alu instid0(SALU_CYCLE_1) | instskip(NEXT) | instid1(VALU_DEP_1)
	s_mov_b32 s14, exec_lo
	v_cmpx_gt_i32_e64 s31, v10
	s_cbranch_execz .LBB7_59
.LBB7_46:
	v_cmp_ne_u32_e32 vcc_lo, 1, v11
	s_cbranch_vccnz .LBB7_52
; %bb.47:
	v_dual_mov_b32 v6, 0 :: v_dual_mov_b32 v5, 0
	v_mov_b32_e32 v4, 0
	s_and_not1_b32 vcc_lo, exec_lo, s33
	s_mov_b32 s14, 0
	s_cbranch_vccnz .LBB7_53
; %bb.48:
	s_add_i32 s15, s30, 1
	v_dual_mov_b32 v5, 0 :: v_dual_mov_b32 v4, 0
	v_mov_b32_e32 v6, 0
	v_mov_b32_e32 v0, v10
	s_and_b32 s15, s15, 30
	s_add_u32 s0, s0, 0xffffffec
	s_addc_u32 s1, s1, -1
	s_set_inst_prefetch_distance 0x1
	.p2align	6
.LBB7_49:                               ; =>This Inner Loop Header: Depth=1
	s_clause 0x3
	s_load_b128 s[36:39], s[0:1], 0x18
	s_load_b64 s[28:29], s[0:1], 0x28
	s_load_b128 s[40:43], s[0:1], 0xd8
	s_load_b64 s[34:35], s[0:1], 0xe8
	s_add_u32 s0, s0, 24
	s_addc_u32 s1, s1, 0
	s_add_i32 s15, s15, -2
	s_delay_alu instid0(SALU_CYCLE_1) | instskip(SKIP_2) | instid1(VALU_DEP_1)
	s_cmp_eq_u32 s15, 0
	s_waitcnt lgkmcnt(0)
	v_mul_hi_u32 v1, s37, v0
	v_add_nc_u32_e32 v1, v0, v1
	s_delay_alu instid0(VALU_DEP_1) | instskip(NEXT) | instid1(VALU_DEP_1)
	v_lshrrev_b32_e32 v1, s38, v1
	v_mul_hi_u32 v2, s28, v1
	v_mul_lo_u32 v3, v1, s36
	s_delay_alu instid0(VALU_DEP_2) | instskip(NEXT) | instid1(VALU_DEP_2)
	v_add_nc_u32_e32 v2, v1, v2
	v_sub_nc_u32_e32 v3, v0, v3
	s_delay_alu instid0(VALU_DEP_2) | instskip(NEXT) | instid1(VALU_DEP_2)
	v_lshrrev_b32_e32 v0, s29, v2
	v_mul_lo_u32 v7, v3, s40
	s_delay_alu instid0(VALU_DEP_2) | instskip(NEXT) | instid1(VALU_DEP_1)
	v_mul_lo_u32 v2, v0, s39
	v_sub_nc_u32_e32 v1, v1, v2
	v_mul_lo_u32 v2, v3, s41
	v_mul_lo_u32 v3, v3, s42
	s_delay_alu instid0(VALU_DEP_3) | instskip(SKIP_2) | instid1(VALU_DEP_3)
	v_mul_lo_u32 v8, v1, s43
	v_mul_lo_u32 v9, v1, s34
	;; [unrolled: 1-line block ×3, first 2 shown]
	v_add3_u32 v6, v7, v6, v8
	s_delay_alu instid0(VALU_DEP_3) | instskip(NEXT) | instid1(VALU_DEP_3)
	v_add3_u32 v4, v2, v4, v9
	v_add3_u32 v5, v3, v5, v1
	s_cbranch_scc0 .LBB7_49
; %bb.50:
	s_set_inst_prefetch_distance 0x2
	s_bitcmp1_b32 s30, 0
	s_cselect_b32 s15, -1, 0
	s_delay_alu instid0(SALU_CYCLE_1)
	s_and_b32 vcc_lo, exec_lo, s15
	s_cbranch_vccnz .LBB7_53
; %bb.51:
	s_clause 0x3
	s_load_b64 s[28:29], s[0:1], 0x18
	s_load_b32 s15, s[0:1], 0x20
	s_load_b64 s[30:31], s[0:1], 0xd8
	s_load_b32 s0, s[0:1], 0xe0
	s_waitcnt lgkmcnt(0)
	v_mul_hi_u32 v1, s29, v0
	s_delay_alu instid0(VALU_DEP_1) | instskip(NEXT) | instid1(VALU_DEP_1)
	v_add_nc_u32_e32 v1, v0, v1
	v_lshrrev_b32_e32 v1, s15, v1
	s_delay_alu instid0(VALU_DEP_1) | instskip(NEXT) | instid1(VALU_DEP_1)
	v_mul_lo_u32 v1, v1, s28
	v_sub_nc_u32_e32 v7, v0, v1
	s_delay_alu instid0(VALU_DEP_1) | instskip(SKIP_2) | instid1(VALU_DEP_3)
	v_mad_u64_u32 v[0:1], null, v7, s30, v[6:7]
	v_mad_u64_u32 v[1:2], null, v7, s31, v[4:5]
	;; [unrolled: 1-line block ×3, first 2 shown]
	v_mov_b32_e32 v6, v0
	s_delay_alu instid0(VALU_DEP_2)
	v_dual_mov_b32 v4, v1 :: v_dual_mov_b32 v5, v2
	s_branch .LBB7_53
.LBB7_52:
	s_mov_b32 s14, -1
                                        ; implicit-def: $vgpr6
                                        ; implicit-def: $vgpr4
                                        ; implicit-def: $vgpr5
.LBB7_53:
	s_delay_alu instid0(SALU_CYCLE_1)
	s_and_not1_b32 vcc_lo, exec_lo, s14
	s_cbranch_vccnz .LBB7_56
; %bb.54:
	v_mul_hi_u32 v0, s6, v10
	s_and_not1_b32 vcc_lo, exec_lo, s11
	s_delay_alu instid0(VALU_DEP_1) | instskip(NEXT) | instid1(VALU_DEP_1)
	v_add_nc_u32_e32 v0, v10, v0
	v_lshrrev_b32_e32 v0, s7, v0
	s_delay_alu instid0(VALU_DEP_1) | instskip(NEXT) | instid1(VALU_DEP_1)
	v_mul_lo_u32 v1, v0, s5
	v_sub_nc_u32_e32 v1, v10, v1
	s_delay_alu instid0(VALU_DEP_1)
	v_mul_lo_u32 v6, v1, s24
	v_mul_lo_u32 v4, v1, s25
	;; [unrolled: 1-line block ×3, first 2 shown]
	s_cbranch_vccnz .LBB7_56
; %bb.55:
	v_mul_hi_u32 v1, s9, v0
	s_delay_alu instid0(VALU_DEP_1) | instskip(NEXT) | instid1(VALU_DEP_1)
	v_add_nc_u32_e32 v1, v0, v1
	v_lshrrev_b32_e32 v1, s10, v1
	s_delay_alu instid0(VALU_DEP_1) | instskip(NEXT) | instid1(VALU_DEP_1)
	v_mul_lo_u32 v1, v1, s8
	v_sub_nc_u32_e32 v7, v0, v1
	s_delay_alu instid0(VALU_DEP_1) | instskip(SKIP_2) | instid1(VALU_DEP_3)
	v_mad_u64_u32 v[0:1], null, v7, s27, v[6:7]
	v_mad_u64_u32 v[1:2], null, v7, s12, v[4:5]
	;; [unrolled: 1-line block ×3, first 2 shown]
	v_mov_b32_e32 v6, v0
	s_delay_alu instid0(VALU_DEP_2)
	v_dual_mov_b32 v4, v1 :: v_dual_mov_b32 v5, v2
.LBB7_56:
	s_and_not1_b32 vcc_lo, exec_lo, s4
	s_cbranch_vccnz .LBB7_59
; %bb.57:
	global_load_b128 v[0:3], v6, s[20:21]
	v_add_co_u32 v6, s0, s20, v6
	s_delay_alu instid0(VALU_DEP_1) | instskip(SKIP_1) | instid1(VALU_DEP_1)
	v_add_co_ci_u32_e64 v7, null, s21, 0, s0
	v_add_co_u32 v8, s0, s2, v5
	v_add_co_ci_u32_e64 v9, null, s3, 0, s0
	v_add_co_u32 v4, s0, v4, s22
	s_delay_alu instid0(VALU_DEP_1) | instskip(SKIP_1) | instid1(VALU_DEP_2)
	v_add_co_ci_u32_e64 v5, null, 0, s23, s0
	s_ashr_i32 s19, s18, 31
	v_add_co_u32 v4, vcc_lo, v4, 8
	s_delay_alu instid0(VALU_DEP_2)
	v_add_co_ci_u32_e32 v5, vcc_lo, 0, v5, vcc_lo
	s_ashr_i32 s3, s17, 31
	s_mov_b32 s2, s17
	s_lshl_b64 s[0:1], s[18:19], 3
	s_lshl_b64 s[2:3], s[2:3], 4
	.p2align	6
.LBB7_58:                               ; =>This Inner Loop Header: Depth=1
	global_load_b64 v[14:15], v[8:9], off
	global_load_b128 v[10:13], v[4:5], off offset:-8
	v_add_co_u32 v8, vcc_lo, v8, s0
	v_add_co_ci_u32_e32 v9, vcc_lo, s1, v9, vcc_lo
	v_add_co_u32 v4, vcc_lo, v4, s2
	v_add_co_ci_u32_e32 v5, vcc_lo, s3, v5, vcc_lo
	s_add_i32 s16, s16, -1
	s_delay_alu instid0(SALU_CYCLE_1)
	s_cmp_lg_u32 s16, 0
	s_waitcnt vmcnt(0)
	v_fma_f64 v[0:1], v[14:15], v[10:11], v[0:1]
	v_fma_f64 v[2:3], v[14:15], v[12:13], v[2:3]
	global_store_b128 v[6:7], v[0:3], off
	s_cbranch_scc1 .LBB7_58
.LBB7_59:
	s_nop 0
	s_sendmsg sendmsg(MSG_DEALLOC_VGPRS)
	s_endpgm
	.section	.rodata,"a",@progbits
	.p2align	6, 0x0
	.amdhsa_kernel _ZN2at6native12_GLOBAL__N_116_elemwise_kernelILi256ELi4EZNS1_43_compute_linear_combination_internal_kernelIN3c107complexIdEEEEvRNS_14TensorIteratorEiiiEUliE_EEviT1_
		.amdhsa_group_segment_fixed_size 0
		.amdhsa_private_segment_fixed_size 0
		.amdhsa_kernarg_size 440
		.amdhsa_user_sgpr_count 15
		.amdhsa_user_sgpr_dispatch_ptr 0
		.amdhsa_user_sgpr_queue_ptr 0
		.amdhsa_user_sgpr_kernarg_segment_ptr 1
		.amdhsa_user_sgpr_dispatch_id 0
		.amdhsa_user_sgpr_private_segment_size 0
		.amdhsa_wavefront_size32 1
		.amdhsa_uses_dynamic_stack 0
		.amdhsa_enable_private_segment 0
		.amdhsa_system_sgpr_workgroup_id_x 1
		.amdhsa_system_sgpr_workgroup_id_y 0
		.amdhsa_system_sgpr_workgroup_id_z 0
		.amdhsa_system_sgpr_workgroup_info 0
		.amdhsa_system_vgpr_workitem_id 0
		.amdhsa_next_free_vgpr 18
		.amdhsa_next_free_sgpr 46
		.amdhsa_reserve_vcc 1
		.amdhsa_float_round_mode_32 0
		.amdhsa_float_round_mode_16_64 0
		.amdhsa_float_denorm_mode_32 3
		.amdhsa_float_denorm_mode_16_64 3
		.amdhsa_dx10_clamp 1
		.amdhsa_ieee_mode 1
		.amdhsa_fp16_overflow 0
		.amdhsa_workgroup_processor_mode 1
		.amdhsa_memory_ordered 1
		.amdhsa_forward_progress 0
		.amdhsa_shared_vgpr_count 0
		.amdhsa_exception_fp_ieee_invalid_op 0
		.amdhsa_exception_fp_denorm_src 0
		.amdhsa_exception_fp_ieee_div_zero 0
		.amdhsa_exception_fp_ieee_overflow 0
		.amdhsa_exception_fp_ieee_underflow 0
		.amdhsa_exception_fp_ieee_inexact 0
		.amdhsa_exception_int_div_zero 0
	.end_amdhsa_kernel
	.section	.text._ZN2at6native12_GLOBAL__N_116_elemwise_kernelILi256ELi4EZNS1_43_compute_linear_combination_internal_kernelIN3c107complexIdEEEEvRNS_14TensorIteratorEiiiEUliE_EEviT1_,"axG",@progbits,_ZN2at6native12_GLOBAL__N_116_elemwise_kernelILi256ELi4EZNS1_43_compute_linear_combination_internal_kernelIN3c107complexIdEEEEvRNS_14TensorIteratorEiiiEUliE_EEviT1_,comdat
.Lfunc_end7:
	.size	_ZN2at6native12_GLOBAL__N_116_elemwise_kernelILi256ELi4EZNS1_43_compute_linear_combination_internal_kernelIN3c107complexIdEEEEvRNS_14TensorIteratorEiiiEUliE_EEviT1_, .Lfunc_end7-_ZN2at6native12_GLOBAL__N_116_elemwise_kernelILi256ELi4EZNS1_43_compute_linear_combination_internal_kernelIN3c107complexIdEEEEvRNS_14TensorIteratorEiiiEUliE_EEviT1_
                                        ; -- End function
	.section	.AMDGPU.csdata,"",@progbits
; Kernel info:
; codeLenInByte = 3544
; NumSgprs: 48
; NumVgprs: 18
; ScratchSize: 0
; MemoryBound: 0
; FloatMode: 240
; IeeeMode: 1
; LDSByteSize: 0 bytes/workgroup (compile time only)
; SGPRBlocks: 5
; VGPRBlocks: 2
; NumSGPRsForWavesPerEU: 48
; NumVGPRsForWavesPerEU: 18
; Occupancy: 16
; WaveLimiterHint : 1
; COMPUTE_PGM_RSRC2:SCRATCH_EN: 0
; COMPUTE_PGM_RSRC2:USER_SGPR: 15
; COMPUTE_PGM_RSRC2:TRAP_HANDLER: 0
; COMPUTE_PGM_RSRC2:TGID_X_EN: 1
; COMPUTE_PGM_RSRC2:TGID_Y_EN: 0
; COMPUTE_PGM_RSRC2:TGID_Z_EN: 0
; COMPUTE_PGM_RSRC2:TIDIG_COMP_CNT: 0
	.section	.text._ZN2at6native12_GLOBAL__N_116_elemwise_kernelILi256ELi4EZNS1_43_compute_linear_combination_internal_kernelIN3c107complexIfEEEEvRNS_14TensorIteratorEiiiEUliE_EEviT1_,"axG",@progbits,_ZN2at6native12_GLOBAL__N_116_elemwise_kernelILi256ELi4EZNS1_43_compute_linear_combination_internal_kernelIN3c107complexIfEEEEvRNS_14TensorIteratorEiiiEUliE_EEviT1_,comdat
	.globl	_ZN2at6native12_GLOBAL__N_116_elemwise_kernelILi256ELi4EZNS1_43_compute_linear_combination_internal_kernelIN3c107complexIfEEEEvRNS_14TensorIteratorEiiiEUliE_EEviT1_ ; -- Begin function _ZN2at6native12_GLOBAL__N_116_elemwise_kernelILi256ELi4EZNS1_43_compute_linear_combination_internal_kernelIN3c107complexIfEEEEvRNS_14TensorIteratorEiiiEUliE_EEviT1_
	.p2align	8
	.type	_ZN2at6native12_GLOBAL__N_116_elemwise_kernelILi256ELi4EZNS1_43_compute_linear_combination_internal_kernelIN3c107complexIfEEEEvRNS_14TensorIteratorEiiiEUliE_EEviT1_,@function
_ZN2at6native12_GLOBAL__N_116_elemwise_kernelILi256ELi4EZNS1_43_compute_linear_combination_internal_kernelIN3c107complexIfEEEEvRNS_14TensorIteratorEiiiEUliE_EEviT1_: ; @_ZN2at6native12_GLOBAL__N_116_elemwise_kernelILi256ELi4EZNS1_43_compute_linear_combination_internal_kernelIN3c107complexIfEEEEvRNS_14TensorIteratorEiiiEUliE_EEviT1_
; %bb.0:
	s_clause 0x6
	s_load_b256 s[4:11], s[0:1], 0x8
	s_load_b32 s31, s[0:1], 0x0
	s_load_b128 s[16:19], s[0:1], 0x1a8
	s_load_b128 s[24:27], s[0:1], 0xcc
	s_load_b64 s[12:13], s[0:1], 0xdc
	s_load_b64 s[2:3], s[0:1], 0x1a0
	s_load_b128 s[20:23], s[0:1], 0x190
	s_or_b32 s0, s0, 8
	v_lshl_or_b32 v9, s15, 10, v0
	s_waitcnt lgkmcnt(0)
	s_mov_b32 s19, -1
	s_mov_b32 s34, exec_lo
	s_add_i32 s11, s4, -1
	s_delay_alu instid0(SALU_CYCLE_1)
	s_cmp_gt_u32 s11, 1
	s_cselect_b32 s14, -1, 0
	s_cmp_lg_u32 s4, 0
	v_cndmask_b32_e64 v10, 0, 1, s14
	s_cselect_b32 s33, -1, 0
	s_min_u32 s30, s11, 15
	s_cmp_gt_u32 s4, 1
	s_cselect_b32 s11, -1, 0
	s_cmp_gt_i32 s16, 0
	s_cselect_b32 s4, -1, 0
	v_cmpx_gt_i32_e64 s31, v9
	s_cbranch_execnz .LBB8_4
; %bb.1:
	s_or_b32 exec_lo, exec_lo, s34
	s_delay_alu instid0(SALU_CYCLE_1)
	s_mov_b32 s34, exec_lo
	v_cmpx_gt_i32_e64 s31, v9
	s_cbranch_execnz .LBB8_18
.LBB8_2:
	s_or_b32 exec_lo, exec_lo, s34
	s_delay_alu instid0(SALU_CYCLE_1)
	s_mov_b32 s34, exec_lo
	v_cmpx_gt_i32_e64 s31, v9
	s_cbranch_execnz .LBB8_32
.LBB8_3:
	s_or_b32 exec_lo, exec_lo, s34
	s_delay_alu instid0(SALU_CYCLE_1)
	s_mov_b32 s14, exec_lo
	v_cmpx_gt_i32_e64 s31, v9
	s_cbranch_execnz .LBB8_46
	s_branch .LBB8_59
.LBB8_4:
	s_and_not1_b32 vcc_lo, exec_lo, s14
	s_cbranch_vccnz .LBB8_10
; %bb.5:
	v_dual_mov_b32 v2, 0 :: v_dual_mov_b32 v1, 0
	v_mov_b32_e32 v0, 0
	s_and_not1_b32 vcc_lo, exec_lo, s33
	s_mov_b32 s19, 0
	s_cbranch_vccnz .LBB8_11
; %bb.6:
	s_add_i32 s14, s30, 1
	v_dual_mov_b32 v0, 0 :: v_dual_mov_b32 v1, 0
	v_dual_mov_b32 v2, 0 :: v_dual_mov_b32 v3, v9
	s_and_b32 s28, s14, 30
	s_add_u32 s14, s0, 0xffffffec
	s_addc_u32 s15, s1, -1
	s_set_inst_prefetch_distance 0x1
	.p2align	6
.LBB8_7:                                ; =>This Inner Loop Header: Depth=1
	s_clause 0x2
	s_load_b128 s[36:39], s[14:15], 0x18
	s_load_b64 s[44:45], s[14:15], 0x28
	s_load_b128 s[40:43], s[14:15], 0xd8
	s_waitcnt lgkmcnt(0)
	v_mul_hi_u32 v4, s37, v3
	s_delay_alu instid0(VALU_DEP_1) | instskip(NEXT) | instid1(VALU_DEP_1)
	v_add_nc_u32_e32 v4, v3, v4
	v_lshrrev_b32_e32 v4, s38, v4
	s_delay_alu instid0(VALU_DEP_1)
	v_mul_hi_u32 v5, s44, v4
	v_mul_lo_u32 v6, v4, s36
	s_load_b64 s[36:37], s[14:15], 0xe8
	s_add_u32 s14, s14, 24
	s_addc_u32 s15, s15, 0
	s_add_i32 s28, s28, -2
	s_delay_alu instid0(SALU_CYCLE_1) | instskip(NEXT) | instid1(VALU_DEP_2)
	s_cmp_lg_u32 s28, 0
	v_add_nc_u32_e32 v5, v4, v5
	s_delay_alu instid0(VALU_DEP_2) | instskip(NEXT) | instid1(VALU_DEP_2)
	v_sub_nc_u32_e32 v6, v3, v6
	v_lshrrev_b32_e32 v3, s45, v5
	s_delay_alu instid0(VALU_DEP_2) | instskip(NEXT) | instid1(VALU_DEP_2)
	v_mul_lo_u32 v7, v6, s40
	v_mul_lo_u32 v5, v3, s39
	s_delay_alu instid0(VALU_DEP_1) | instskip(SKIP_2) | instid1(VALU_DEP_3)
	v_sub_nc_u32_e32 v4, v4, v5
	v_mul_lo_u32 v5, v6, s41
	v_mul_lo_u32 v6, v6, s42
	;; [unrolled: 1-line block ×3, first 2 shown]
	s_waitcnt lgkmcnt(0)
	v_mul_lo_u32 v11, v4, s36
	v_mul_lo_u32 v4, v4, s37
	s_delay_alu instid0(VALU_DEP_3) | instskip(NEXT) | instid1(VALU_DEP_3)
	v_add3_u32 v2, v7, v2, v8
	v_add3_u32 v1, v5, v1, v11
	s_delay_alu instid0(VALU_DEP_3)
	v_add3_u32 v0, v6, v0, v4
	s_cbranch_scc1 .LBB8_7
; %bb.8:
	s_set_inst_prefetch_distance 0x2
	s_bitcmp1_b32 s30, 0
	s_cselect_b32 s28, -1, 0
	s_delay_alu instid0(SALU_CYCLE_1)
	s_and_b32 vcc_lo, exec_lo, s28
	s_cbranch_vccnz .LBB8_11
; %bb.9:
	s_clause 0x3
	s_load_b64 s[28:29], s[14:15], 0x18
	s_load_b32 s35, s[14:15], 0x20
	s_load_b64 s[36:37], s[14:15], 0xd8
	s_load_b32 s14, s[14:15], 0xe0
	s_waitcnt lgkmcnt(0)
	v_mul_hi_u32 v4, s29, v3
	s_delay_alu instid0(VALU_DEP_1) | instskip(NEXT) | instid1(VALU_DEP_1)
	v_add_nc_u32_e32 v4, v3, v4
	v_lshrrev_b32_e32 v4, s35, v4
	s_delay_alu instid0(VALU_DEP_1) | instskip(NEXT) | instid1(VALU_DEP_1)
	v_mul_lo_u32 v4, v4, s28
	v_sub_nc_u32_e32 v7, v3, v4
	s_delay_alu instid0(VALU_DEP_1) | instskip(SKIP_2) | instid1(VALU_DEP_2)
	v_mad_u64_u32 v[3:4], null, v7, s36, v[2:3]
	v_mad_u64_u32 v[4:5], null, v7, s37, v[1:2]
	;; [unrolled: 1-line block ×3, first 2 shown]
	v_dual_mov_b32 v2, v3 :: v_dual_mov_b32 v1, v4
	s_delay_alu instid0(VALU_DEP_2)
	v_mov_b32_e32 v0, v5
	s_branch .LBB8_11
.LBB8_10:
                                        ; implicit-def: $vgpr2
                                        ; implicit-def: $vgpr1
                                        ; implicit-def: $vgpr0
.LBB8_11:
	s_and_not1_b32 vcc_lo, exec_lo, s19
	s_cbranch_vccnz .LBB8_14
; %bb.12:
	v_mul_hi_u32 v0, s6, v9
	s_and_not1_b32 vcc_lo, exec_lo, s11
	s_delay_alu instid0(VALU_DEP_1) | instskip(NEXT) | instid1(VALU_DEP_1)
	v_add_nc_u32_e32 v0, v9, v0
	v_lshrrev_b32_e32 v3, s7, v0
	s_delay_alu instid0(VALU_DEP_1) | instskip(NEXT) | instid1(VALU_DEP_1)
	v_mul_lo_u32 v0, v3, s5
	v_sub_nc_u32_e32 v0, v9, v0
	s_delay_alu instid0(VALU_DEP_1)
	v_mul_lo_u32 v2, v0, s24
	v_mul_lo_u32 v1, v0, s25
	v_mul_lo_u32 v0, v0, s26
	s_cbranch_vccnz .LBB8_14
; %bb.13:
	v_mul_hi_u32 v4, s9, v3
	s_delay_alu instid0(VALU_DEP_1) | instskip(NEXT) | instid1(VALU_DEP_1)
	v_add_nc_u32_e32 v4, v3, v4
	v_lshrrev_b32_e32 v4, s10, v4
	s_delay_alu instid0(VALU_DEP_1) | instskip(NEXT) | instid1(VALU_DEP_1)
	v_mul_lo_u32 v4, v4, s8
	v_sub_nc_u32_e32 v7, v3, v4
	s_delay_alu instid0(VALU_DEP_1) | instskip(SKIP_2) | instid1(VALU_DEP_2)
	v_mad_u64_u32 v[3:4], null, v7, s27, v[2:3]
	v_mad_u64_u32 v[4:5], null, v7, s12, v[1:2]
	;; [unrolled: 1-line block ×3, first 2 shown]
	v_dual_mov_b32 v2, v3 :: v_dual_mov_b32 v1, v4
	s_delay_alu instid0(VALU_DEP_2)
	v_mov_b32_e32 v0, v5
.LBB8_14:
	s_and_not1_b32 vcc_lo, exec_lo, s4
	s_cbranch_vccnz .LBB8_17
; %bb.15:
	global_load_b64 v[3:4], v2, s[20:21]
	v_add_co_u32 v5, s14, s20, v2
	s_delay_alu instid0(VALU_DEP_1) | instskip(SKIP_1) | instid1(VALU_DEP_1)
	v_add_co_ci_u32_e64 v6, null, s21, 0, s14
	v_add_co_u32 v1, s14, s22, v1
	v_add_co_ci_u32_e64 v2, null, s23, 0, s14
	v_add_co_u32 v7, s14, s2, v0
	s_delay_alu instid0(VALU_DEP_1)
	v_add_co_ci_u32_e64 v8, null, s3, 0, s14
	s_ashr_i32 s19, s18, 31
	s_ashr_i32 s29, s17, 31
	s_mov_b32 s28, s17
	s_lshl_b64 s[14:15], s[18:19], 2
	s_lshl_b64 s[28:29], s[28:29], 3
	s_mov_b32 s19, s16
	.p2align	6
.LBB8_16:                               ; =>This Inner Loop Header: Depth=1
	global_load_b64 v[11:12], v[1:2], off
	global_load_b32 v0, v[7:8], off
	v_add_co_u32 v7, vcc_lo, v7, s14
	v_add_co_ci_u32_e32 v8, vcc_lo, s15, v8, vcc_lo
	v_add_co_u32 v1, vcc_lo, v1, s28
	v_add_co_ci_u32_e32 v2, vcc_lo, s29, v2, vcc_lo
	s_add_i32 s19, s19, -1
	s_delay_alu instid0(SALU_CYCLE_1)
	s_cmp_lg_u32 s19, 0
	s_waitcnt vmcnt(0)
	v_fmac_f32_e32 v3, v0, v11
	v_fmac_f32_e32 v4, v0, v12
	global_store_b64 v[5:6], v[3:4], off
	s_cbranch_scc1 .LBB8_16
.LBB8_17:
	v_add_nc_u32_e32 v9, 0x100, v9
	s_or_b32 exec_lo, exec_lo, s34
	s_delay_alu instid0(SALU_CYCLE_1) | instskip(NEXT) | instid1(VALU_DEP_1)
	s_mov_b32 s34, exec_lo
	v_cmpx_gt_i32_e64 s31, v9
	s_cbranch_execz .LBB8_2
.LBB8_18:
	v_cmp_ne_u32_e32 vcc_lo, 1, v10
	s_cbranch_vccnz .LBB8_24
; %bb.19:
	v_dual_mov_b32 v2, 0 :: v_dual_mov_b32 v1, 0
	v_mov_b32_e32 v0, 0
	s_and_not1_b32 vcc_lo, exec_lo, s33
	s_mov_b32 s19, 0
	s_cbranch_vccnz .LBB8_25
; %bb.20:
	s_add_i32 s14, s30, 1
	v_dual_mov_b32 v0, 0 :: v_dual_mov_b32 v1, 0
	v_dual_mov_b32 v2, 0 :: v_dual_mov_b32 v3, v9
	s_and_b32 s28, s14, 30
	s_add_u32 s14, s0, 0xffffffec
	s_addc_u32 s15, s1, -1
	s_set_inst_prefetch_distance 0x1
	.p2align	6
.LBB8_21:                               ; =>This Inner Loop Header: Depth=1
	s_clause 0x2
	s_load_b128 s[36:39], s[14:15], 0x18
	s_load_b64 s[44:45], s[14:15], 0x28
	s_load_b128 s[40:43], s[14:15], 0xd8
	s_waitcnt lgkmcnt(0)
	v_mul_hi_u32 v4, s37, v3
	s_delay_alu instid0(VALU_DEP_1) | instskip(NEXT) | instid1(VALU_DEP_1)
	v_add_nc_u32_e32 v4, v3, v4
	v_lshrrev_b32_e32 v4, s38, v4
	s_delay_alu instid0(VALU_DEP_1)
	v_mul_hi_u32 v5, s44, v4
	v_mul_lo_u32 v6, v4, s36
	s_load_b64 s[36:37], s[14:15], 0xe8
	s_add_u32 s14, s14, 24
	s_addc_u32 s15, s15, 0
	s_add_i32 s28, s28, -2
	s_delay_alu instid0(SALU_CYCLE_1) | instskip(NEXT) | instid1(VALU_DEP_2)
	s_cmp_eq_u32 s28, 0
	v_add_nc_u32_e32 v5, v4, v5
	s_delay_alu instid0(VALU_DEP_2) | instskip(NEXT) | instid1(VALU_DEP_2)
	v_sub_nc_u32_e32 v6, v3, v6
	v_lshrrev_b32_e32 v3, s45, v5
	s_delay_alu instid0(VALU_DEP_2) | instskip(NEXT) | instid1(VALU_DEP_2)
	v_mul_lo_u32 v7, v6, s40
	v_mul_lo_u32 v5, v3, s39
	s_delay_alu instid0(VALU_DEP_1) | instskip(SKIP_2) | instid1(VALU_DEP_3)
	v_sub_nc_u32_e32 v4, v4, v5
	v_mul_lo_u32 v5, v6, s41
	v_mul_lo_u32 v6, v6, s42
	v_mul_lo_u32 v8, v4, s43
	s_waitcnt lgkmcnt(0)
	v_mul_lo_u32 v11, v4, s36
	v_mul_lo_u32 v4, v4, s37
	s_delay_alu instid0(VALU_DEP_3) | instskip(NEXT) | instid1(VALU_DEP_3)
	v_add3_u32 v2, v7, v2, v8
	v_add3_u32 v1, v5, v1, v11
	s_delay_alu instid0(VALU_DEP_3)
	v_add3_u32 v0, v6, v0, v4
	s_cbranch_scc0 .LBB8_21
; %bb.22:
	s_set_inst_prefetch_distance 0x2
	s_bitcmp1_b32 s30, 0
	s_cselect_b32 s28, -1, 0
	s_delay_alu instid0(SALU_CYCLE_1)
	s_and_b32 vcc_lo, exec_lo, s28
	s_cbranch_vccnz .LBB8_25
; %bb.23:
	s_clause 0x3
	s_load_b64 s[28:29], s[14:15], 0x18
	s_load_b32 s35, s[14:15], 0x20
	s_load_b64 s[36:37], s[14:15], 0xd8
	s_load_b32 s14, s[14:15], 0xe0
	s_waitcnt lgkmcnt(0)
	v_mul_hi_u32 v4, s29, v3
	s_delay_alu instid0(VALU_DEP_1) | instskip(NEXT) | instid1(VALU_DEP_1)
	v_add_nc_u32_e32 v4, v3, v4
	v_lshrrev_b32_e32 v4, s35, v4
	s_delay_alu instid0(VALU_DEP_1) | instskip(NEXT) | instid1(VALU_DEP_1)
	v_mul_lo_u32 v4, v4, s28
	v_sub_nc_u32_e32 v7, v3, v4
	s_delay_alu instid0(VALU_DEP_1) | instskip(SKIP_2) | instid1(VALU_DEP_2)
	v_mad_u64_u32 v[3:4], null, v7, s36, v[2:3]
	v_mad_u64_u32 v[4:5], null, v7, s37, v[1:2]
	;; [unrolled: 1-line block ×3, first 2 shown]
	v_dual_mov_b32 v2, v3 :: v_dual_mov_b32 v1, v4
	s_delay_alu instid0(VALU_DEP_2)
	v_mov_b32_e32 v0, v5
	s_branch .LBB8_25
.LBB8_24:
	s_mov_b32 s19, -1
                                        ; implicit-def: $vgpr2
                                        ; implicit-def: $vgpr1
                                        ; implicit-def: $vgpr0
.LBB8_25:
	s_delay_alu instid0(SALU_CYCLE_1)
	s_and_not1_b32 vcc_lo, exec_lo, s19
	s_cbranch_vccnz .LBB8_28
; %bb.26:
	v_mul_hi_u32 v0, s6, v9
	s_and_not1_b32 vcc_lo, exec_lo, s11
	s_delay_alu instid0(VALU_DEP_1) | instskip(NEXT) | instid1(VALU_DEP_1)
	v_add_nc_u32_e32 v0, v9, v0
	v_lshrrev_b32_e32 v3, s7, v0
	s_delay_alu instid0(VALU_DEP_1) | instskip(NEXT) | instid1(VALU_DEP_1)
	v_mul_lo_u32 v0, v3, s5
	v_sub_nc_u32_e32 v0, v9, v0
	s_delay_alu instid0(VALU_DEP_1)
	v_mul_lo_u32 v2, v0, s24
	v_mul_lo_u32 v1, v0, s25
	;; [unrolled: 1-line block ×3, first 2 shown]
	s_cbranch_vccnz .LBB8_28
; %bb.27:
	v_mul_hi_u32 v4, s9, v3
	s_delay_alu instid0(VALU_DEP_1) | instskip(NEXT) | instid1(VALU_DEP_1)
	v_add_nc_u32_e32 v4, v3, v4
	v_lshrrev_b32_e32 v4, s10, v4
	s_delay_alu instid0(VALU_DEP_1) | instskip(NEXT) | instid1(VALU_DEP_1)
	v_mul_lo_u32 v4, v4, s8
	v_sub_nc_u32_e32 v7, v3, v4
	s_delay_alu instid0(VALU_DEP_1) | instskip(SKIP_2) | instid1(VALU_DEP_2)
	v_mad_u64_u32 v[3:4], null, v7, s27, v[2:3]
	v_mad_u64_u32 v[4:5], null, v7, s12, v[1:2]
	v_mad_u64_u32 v[5:6], null, v7, s13, v[0:1]
	v_dual_mov_b32 v2, v3 :: v_dual_mov_b32 v1, v4
	s_delay_alu instid0(VALU_DEP_2)
	v_mov_b32_e32 v0, v5
.LBB8_28:
	s_and_not1_b32 vcc_lo, exec_lo, s4
	s_cbranch_vccnz .LBB8_31
; %bb.29:
	global_load_b64 v[3:4], v2, s[20:21]
	v_add_co_u32 v5, s14, s20, v2
	s_delay_alu instid0(VALU_DEP_1) | instskip(SKIP_1) | instid1(VALU_DEP_1)
	v_add_co_ci_u32_e64 v6, null, s21, 0, s14
	v_add_co_u32 v1, s14, s22, v1
	v_add_co_ci_u32_e64 v2, null, s23, 0, s14
	v_add_co_u32 v7, s14, s2, v0
	s_delay_alu instid0(VALU_DEP_1)
	v_add_co_ci_u32_e64 v8, null, s3, 0, s14
	s_ashr_i32 s19, s18, 31
	s_ashr_i32 s29, s17, 31
	s_mov_b32 s28, s17
	s_lshl_b64 s[14:15], s[18:19], 2
	s_lshl_b64 s[28:29], s[28:29], 3
	s_mov_b32 s19, s16
	.p2align	6
.LBB8_30:                               ; =>This Inner Loop Header: Depth=1
	global_load_b64 v[11:12], v[1:2], off
	global_load_b32 v0, v[7:8], off
	v_add_co_u32 v7, vcc_lo, v7, s14
	v_add_co_ci_u32_e32 v8, vcc_lo, s15, v8, vcc_lo
	v_add_co_u32 v1, vcc_lo, v1, s28
	v_add_co_ci_u32_e32 v2, vcc_lo, s29, v2, vcc_lo
	s_add_i32 s19, s19, -1
	s_delay_alu instid0(SALU_CYCLE_1)
	s_cmp_lg_u32 s19, 0
	s_waitcnt vmcnt(0)
	v_fmac_f32_e32 v3, v0, v11
	v_fmac_f32_e32 v4, v0, v12
	global_store_b64 v[5:6], v[3:4], off
	s_cbranch_scc1 .LBB8_30
.LBB8_31:
	v_add_nc_u32_e32 v9, 0x100, v9
	s_or_b32 exec_lo, exec_lo, s34
	s_delay_alu instid0(SALU_CYCLE_1) | instskip(NEXT) | instid1(VALU_DEP_1)
	s_mov_b32 s34, exec_lo
	v_cmpx_gt_i32_e64 s31, v9
	s_cbranch_execz .LBB8_3
.LBB8_32:
	v_cmp_ne_u32_e32 vcc_lo, 1, v10
	s_cbranch_vccnz .LBB8_38
; %bb.33:
	v_dual_mov_b32 v2, 0 :: v_dual_mov_b32 v1, 0
	v_mov_b32_e32 v0, 0
	s_and_not1_b32 vcc_lo, exec_lo, s33
	s_mov_b32 s19, 0
	s_cbranch_vccnz .LBB8_39
; %bb.34:
	s_add_i32 s14, s30, 1
	v_dual_mov_b32 v0, 0 :: v_dual_mov_b32 v1, 0
	v_dual_mov_b32 v2, 0 :: v_dual_mov_b32 v3, v9
	s_and_b32 s28, s14, 30
	s_add_u32 s14, s0, 0xffffffec
	s_addc_u32 s15, s1, -1
	s_set_inst_prefetch_distance 0x1
	.p2align	6
.LBB8_35:                               ; =>This Inner Loop Header: Depth=1
	s_clause 0x2
	s_load_b128 s[36:39], s[14:15], 0x18
	s_load_b64 s[44:45], s[14:15], 0x28
	s_load_b128 s[40:43], s[14:15], 0xd8
	s_waitcnt lgkmcnt(0)
	v_mul_hi_u32 v4, s37, v3
	s_delay_alu instid0(VALU_DEP_1) | instskip(NEXT) | instid1(VALU_DEP_1)
	v_add_nc_u32_e32 v4, v3, v4
	v_lshrrev_b32_e32 v4, s38, v4
	s_delay_alu instid0(VALU_DEP_1)
	v_mul_hi_u32 v5, s44, v4
	v_mul_lo_u32 v6, v4, s36
	s_load_b64 s[36:37], s[14:15], 0xe8
	s_add_u32 s14, s14, 24
	s_addc_u32 s15, s15, 0
	s_add_i32 s28, s28, -2
	s_delay_alu instid0(SALU_CYCLE_1) | instskip(NEXT) | instid1(VALU_DEP_2)
	s_cmp_eq_u32 s28, 0
	v_add_nc_u32_e32 v5, v4, v5
	s_delay_alu instid0(VALU_DEP_2) | instskip(NEXT) | instid1(VALU_DEP_2)
	v_sub_nc_u32_e32 v6, v3, v6
	v_lshrrev_b32_e32 v3, s45, v5
	s_delay_alu instid0(VALU_DEP_2) | instskip(NEXT) | instid1(VALU_DEP_2)
	v_mul_lo_u32 v7, v6, s40
	v_mul_lo_u32 v5, v3, s39
	s_delay_alu instid0(VALU_DEP_1) | instskip(SKIP_2) | instid1(VALU_DEP_3)
	v_sub_nc_u32_e32 v4, v4, v5
	v_mul_lo_u32 v5, v6, s41
	v_mul_lo_u32 v6, v6, s42
	v_mul_lo_u32 v8, v4, s43
	s_waitcnt lgkmcnt(0)
	v_mul_lo_u32 v11, v4, s36
	v_mul_lo_u32 v4, v4, s37
	s_delay_alu instid0(VALU_DEP_3) | instskip(NEXT) | instid1(VALU_DEP_3)
	v_add3_u32 v2, v7, v2, v8
	v_add3_u32 v1, v5, v1, v11
	s_delay_alu instid0(VALU_DEP_3)
	v_add3_u32 v0, v6, v0, v4
	s_cbranch_scc0 .LBB8_35
; %bb.36:
	s_set_inst_prefetch_distance 0x2
	s_bitcmp1_b32 s30, 0
	s_cselect_b32 s28, -1, 0
	s_delay_alu instid0(SALU_CYCLE_1)
	s_and_b32 vcc_lo, exec_lo, s28
	s_cbranch_vccnz .LBB8_39
; %bb.37:
	s_clause 0x3
	s_load_b64 s[28:29], s[14:15], 0x18
	s_load_b32 s35, s[14:15], 0x20
	s_load_b64 s[36:37], s[14:15], 0xd8
	s_load_b32 s14, s[14:15], 0xe0
	s_waitcnt lgkmcnt(0)
	v_mul_hi_u32 v4, s29, v3
	s_delay_alu instid0(VALU_DEP_1) | instskip(NEXT) | instid1(VALU_DEP_1)
	v_add_nc_u32_e32 v4, v3, v4
	v_lshrrev_b32_e32 v4, s35, v4
	s_delay_alu instid0(VALU_DEP_1) | instskip(NEXT) | instid1(VALU_DEP_1)
	v_mul_lo_u32 v4, v4, s28
	v_sub_nc_u32_e32 v7, v3, v4
	s_delay_alu instid0(VALU_DEP_1) | instskip(SKIP_2) | instid1(VALU_DEP_2)
	v_mad_u64_u32 v[3:4], null, v7, s36, v[2:3]
	v_mad_u64_u32 v[4:5], null, v7, s37, v[1:2]
	;; [unrolled: 1-line block ×3, first 2 shown]
	v_dual_mov_b32 v2, v3 :: v_dual_mov_b32 v1, v4
	s_delay_alu instid0(VALU_DEP_2)
	v_mov_b32_e32 v0, v5
	s_branch .LBB8_39
.LBB8_38:
	s_mov_b32 s19, -1
                                        ; implicit-def: $vgpr2
                                        ; implicit-def: $vgpr1
                                        ; implicit-def: $vgpr0
.LBB8_39:
	s_delay_alu instid0(SALU_CYCLE_1)
	s_and_not1_b32 vcc_lo, exec_lo, s19
	s_cbranch_vccnz .LBB8_42
; %bb.40:
	v_mul_hi_u32 v0, s6, v9
	s_and_not1_b32 vcc_lo, exec_lo, s11
	s_delay_alu instid0(VALU_DEP_1) | instskip(NEXT) | instid1(VALU_DEP_1)
	v_add_nc_u32_e32 v0, v9, v0
	v_lshrrev_b32_e32 v3, s7, v0
	s_delay_alu instid0(VALU_DEP_1) | instskip(NEXT) | instid1(VALU_DEP_1)
	v_mul_lo_u32 v0, v3, s5
	v_sub_nc_u32_e32 v0, v9, v0
	s_delay_alu instid0(VALU_DEP_1)
	v_mul_lo_u32 v2, v0, s24
	v_mul_lo_u32 v1, v0, s25
	v_mul_lo_u32 v0, v0, s26
	s_cbranch_vccnz .LBB8_42
; %bb.41:
	v_mul_hi_u32 v4, s9, v3
	s_delay_alu instid0(VALU_DEP_1) | instskip(NEXT) | instid1(VALU_DEP_1)
	v_add_nc_u32_e32 v4, v3, v4
	v_lshrrev_b32_e32 v4, s10, v4
	s_delay_alu instid0(VALU_DEP_1) | instskip(NEXT) | instid1(VALU_DEP_1)
	v_mul_lo_u32 v4, v4, s8
	v_sub_nc_u32_e32 v7, v3, v4
	s_delay_alu instid0(VALU_DEP_1) | instskip(SKIP_2) | instid1(VALU_DEP_2)
	v_mad_u64_u32 v[3:4], null, v7, s27, v[2:3]
	v_mad_u64_u32 v[4:5], null, v7, s12, v[1:2]
	;; [unrolled: 1-line block ×3, first 2 shown]
	v_dual_mov_b32 v2, v3 :: v_dual_mov_b32 v1, v4
	s_delay_alu instid0(VALU_DEP_2)
	v_mov_b32_e32 v0, v5
.LBB8_42:
	s_and_not1_b32 vcc_lo, exec_lo, s4
	s_cbranch_vccnz .LBB8_45
; %bb.43:
	global_load_b64 v[3:4], v2, s[20:21]
	v_add_co_u32 v5, s14, s20, v2
	s_delay_alu instid0(VALU_DEP_1) | instskip(SKIP_1) | instid1(VALU_DEP_1)
	v_add_co_ci_u32_e64 v6, null, s21, 0, s14
	v_add_co_u32 v1, s14, s22, v1
	v_add_co_ci_u32_e64 v2, null, s23, 0, s14
	v_add_co_u32 v7, s14, s2, v0
	s_delay_alu instid0(VALU_DEP_1)
	v_add_co_ci_u32_e64 v8, null, s3, 0, s14
	s_ashr_i32 s19, s18, 31
	s_ashr_i32 s29, s17, 31
	s_mov_b32 s28, s17
	s_lshl_b64 s[14:15], s[18:19], 2
	s_lshl_b64 s[28:29], s[28:29], 3
	s_mov_b32 s19, s16
	.p2align	6
.LBB8_44:                               ; =>This Inner Loop Header: Depth=1
	global_load_b64 v[11:12], v[1:2], off
	global_load_b32 v0, v[7:8], off
	v_add_co_u32 v7, vcc_lo, v7, s14
	v_add_co_ci_u32_e32 v8, vcc_lo, s15, v8, vcc_lo
	v_add_co_u32 v1, vcc_lo, v1, s28
	v_add_co_ci_u32_e32 v2, vcc_lo, s29, v2, vcc_lo
	s_add_i32 s19, s19, -1
	s_delay_alu instid0(SALU_CYCLE_1)
	s_cmp_lg_u32 s19, 0
	s_waitcnt vmcnt(0)
	v_fmac_f32_e32 v3, v0, v11
	v_fmac_f32_e32 v4, v0, v12
	global_store_b64 v[5:6], v[3:4], off
	s_cbranch_scc1 .LBB8_44
.LBB8_45:
	v_add_nc_u32_e32 v9, 0x100, v9
	s_or_b32 exec_lo, exec_lo, s34
	s_delay_alu instid0(SALU_CYCLE_1) | instskip(NEXT) | instid1(VALU_DEP_1)
	s_mov_b32 s14, exec_lo
	v_cmpx_gt_i32_e64 s31, v9
	s_cbranch_execz .LBB8_59
.LBB8_46:
	v_cmp_ne_u32_e32 vcc_lo, 1, v10
	s_cbranch_vccnz .LBB8_52
; %bb.47:
	v_dual_mov_b32 v2, 0 :: v_dual_mov_b32 v1, 0
	v_mov_b32_e32 v0, 0
	s_and_not1_b32 vcc_lo, exec_lo, s33
	s_mov_b32 s14, 0
	s_cbranch_vccnz .LBB8_53
; %bb.48:
	s_add_i32 s15, s30, 1
	v_dual_mov_b32 v0, 0 :: v_dual_mov_b32 v1, 0
	v_dual_mov_b32 v2, 0 :: v_dual_mov_b32 v3, v9
	s_and_b32 s15, s15, 30
	s_add_u32 s0, s0, 0xffffffec
	s_addc_u32 s1, s1, -1
	s_set_inst_prefetch_distance 0x1
	.p2align	6
.LBB8_49:                               ; =>This Inner Loop Header: Depth=1
	s_clause 0x3
	s_load_b128 s[36:39], s[0:1], 0x18
	s_load_b64 s[28:29], s[0:1], 0x28
	s_load_b128 s[40:43], s[0:1], 0xd8
	s_load_b64 s[34:35], s[0:1], 0xe8
	s_add_u32 s0, s0, 24
	s_addc_u32 s1, s1, 0
	s_add_i32 s15, s15, -2
	s_delay_alu instid0(SALU_CYCLE_1) | instskip(SKIP_2) | instid1(VALU_DEP_1)
	s_cmp_eq_u32 s15, 0
	s_waitcnt lgkmcnt(0)
	v_mul_hi_u32 v4, s37, v3
	v_add_nc_u32_e32 v4, v3, v4
	s_delay_alu instid0(VALU_DEP_1) | instskip(NEXT) | instid1(VALU_DEP_1)
	v_lshrrev_b32_e32 v4, s38, v4
	v_mul_hi_u32 v5, s28, v4
	v_mul_lo_u32 v6, v4, s36
	s_delay_alu instid0(VALU_DEP_2) | instskip(NEXT) | instid1(VALU_DEP_2)
	v_add_nc_u32_e32 v5, v4, v5
	v_sub_nc_u32_e32 v6, v3, v6
	s_delay_alu instid0(VALU_DEP_2) | instskip(NEXT) | instid1(VALU_DEP_2)
	v_lshrrev_b32_e32 v3, s29, v5
	v_mul_lo_u32 v7, v6, s40
	s_delay_alu instid0(VALU_DEP_2) | instskip(NEXT) | instid1(VALU_DEP_1)
	v_mul_lo_u32 v5, v3, s39
	v_sub_nc_u32_e32 v4, v4, v5
	v_mul_lo_u32 v5, v6, s41
	v_mul_lo_u32 v6, v6, s42
	s_delay_alu instid0(VALU_DEP_3) | instskip(SKIP_2) | instid1(VALU_DEP_3)
	v_mul_lo_u32 v8, v4, s43
	v_mul_lo_u32 v10, v4, s34
	;; [unrolled: 1-line block ×3, first 2 shown]
	v_add3_u32 v2, v7, v2, v8
	s_delay_alu instid0(VALU_DEP_3) | instskip(NEXT) | instid1(VALU_DEP_3)
	v_add3_u32 v1, v5, v1, v10
	v_add3_u32 v0, v6, v0, v4
	s_cbranch_scc0 .LBB8_49
; %bb.50:
	s_set_inst_prefetch_distance 0x2
	s_bitcmp1_b32 s30, 0
	s_cselect_b32 s15, -1, 0
	s_delay_alu instid0(SALU_CYCLE_1)
	s_and_b32 vcc_lo, exec_lo, s15
	s_cbranch_vccnz .LBB8_53
; %bb.51:
	s_clause 0x3
	s_load_b64 s[28:29], s[0:1], 0x18
	s_load_b32 s15, s[0:1], 0x20
	s_load_b64 s[30:31], s[0:1], 0xd8
	s_load_b32 s0, s[0:1], 0xe0
	s_waitcnt lgkmcnt(0)
	v_mul_hi_u32 v4, s29, v3
	s_delay_alu instid0(VALU_DEP_1) | instskip(NEXT) | instid1(VALU_DEP_1)
	v_add_nc_u32_e32 v4, v3, v4
	v_lshrrev_b32_e32 v4, s15, v4
	s_delay_alu instid0(VALU_DEP_1) | instskip(NEXT) | instid1(VALU_DEP_1)
	v_mul_lo_u32 v4, v4, s28
	v_sub_nc_u32_e32 v7, v3, v4
	s_delay_alu instid0(VALU_DEP_1) | instskip(SKIP_2) | instid1(VALU_DEP_2)
	v_mad_u64_u32 v[3:4], null, v7, s30, v[2:3]
	v_mad_u64_u32 v[4:5], null, v7, s31, v[1:2]
	;; [unrolled: 1-line block ×3, first 2 shown]
	v_dual_mov_b32 v2, v3 :: v_dual_mov_b32 v1, v4
	s_delay_alu instid0(VALU_DEP_2)
	v_mov_b32_e32 v0, v5
	s_branch .LBB8_53
.LBB8_52:
	s_mov_b32 s14, -1
                                        ; implicit-def: $vgpr2
                                        ; implicit-def: $vgpr1
                                        ; implicit-def: $vgpr0
.LBB8_53:
	s_delay_alu instid0(SALU_CYCLE_1)
	s_and_not1_b32 vcc_lo, exec_lo, s14
	s_cbranch_vccnz .LBB8_56
; %bb.54:
	v_mul_hi_u32 v0, s6, v9
	s_and_not1_b32 vcc_lo, exec_lo, s11
	s_delay_alu instid0(VALU_DEP_1) | instskip(NEXT) | instid1(VALU_DEP_1)
	v_add_nc_u32_e32 v0, v9, v0
	v_lshrrev_b32_e32 v3, s7, v0
	s_delay_alu instid0(VALU_DEP_1) | instskip(NEXT) | instid1(VALU_DEP_1)
	v_mul_lo_u32 v0, v3, s5
	v_sub_nc_u32_e32 v0, v9, v0
	s_delay_alu instid0(VALU_DEP_1)
	v_mul_lo_u32 v2, v0, s24
	v_mul_lo_u32 v1, v0, s25
	;; [unrolled: 1-line block ×3, first 2 shown]
	s_cbranch_vccnz .LBB8_56
; %bb.55:
	v_mul_hi_u32 v4, s9, v3
	s_delay_alu instid0(VALU_DEP_1) | instskip(NEXT) | instid1(VALU_DEP_1)
	v_add_nc_u32_e32 v4, v3, v4
	v_lshrrev_b32_e32 v4, s10, v4
	s_delay_alu instid0(VALU_DEP_1) | instskip(NEXT) | instid1(VALU_DEP_1)
	v_mul_lo_u32 v4, v4, s8
	v_sub_nc_u32_e32 v7, v3, v4
	s_delay_alu instid0(VALU_DEP_1) | instskip(SKIP_2) | instid1(VALU_DEP_2)
	v_mad_u64_u32 v[3:4], null, v7, s27, v[2:3]
	v_mad_u64_u32 v[4:5], null, v7, s12, v[1:2]
	;; [unrolled: 1-line block ×3, first 2 shown]
	v_dual_mov_b32 v2, v3 :: v_dual_mov_b32 v1, v4
	s_delay_alu instid0(VALU_DEP_2)
	v_mov_b32_e32 v0, v5
.LBB8_56:
	s_and_not1_b32 vcc_lo, exec_lo, s4
	s_cbranch_vccnz .LBB8_59
; %bb.57:
	global_load_b64 v[3:4], v2, s[20:21]
	v_add_co_u32 v5, s0, s20, v2
	s_delay_alu instid0(VALU_DEP_1) | instskip(SKIP_1) | instid1(VALU_DEP_1)
	v_add_co_ci_u32_e64 v6, null, s21, 0, s0
	v_add_co_u32 v1, s0, s22, v1
	v_add_co_ci_u32_e64 v2, null, s23, 0, s0
	v_add_co_u32 v7, s0, s2, v0
	s_delay_alu instid0(VALU_DEP_1)
	v_add_co_ci_u32_e64 v8, null, s3, 0, s0
	s_ashr_i32 s19, s18, 31
	s_ashr_i32 s3, s17, 31
	s_mov_b32 s2, s17
	s_lshl_b64 s[0:1], s[18:19], 2
	s_lshl_b64 s[2:3], s[2:3], 3
	.p2align	6
.LBB8_58:                               ; =>This Inner Loop Header: Depth=1
	global_load_b64 v[9:10], v[1:2], off
	global_load_b32 v0, v[7:8], off
	v_add_co_u32 v7, vcc_lo, v7, s0
	v_add_co_ci_u32_e32 v8, vcc_lo, s1, v8, vcc_lo
	v_add_co_u32 v1, vcc_lo, v1, s2
	v_add_co_ci_u32_e32 v2, vcc_lo, s3, v2, vcc_lo
	s_add_i32 s16, s16, -1
	s_delay_alu instid0(SALU_CYCLE_1)
	s_cmp_lg_u32 s16, 0
	s_waitcnt vmcnt(0)
	v_fmac_f32_e32 v3, v0, v9
	v_fmac_f32_e32 v4, v0, v10
	global_store_b64 v[5:6], v[3:4], off
	s_cbranch_scc1 .LBB8_58
.LBB8_59:
	s_nop 0
	s_sendmsg sendmsg(MSG_DEALLOC_VGPRS)
	s_endpgm
	.section	.rodata,"a",@progbits
	.p2align	6, 0x0
	.amdhsa_kernel _ZN2at6native12_GLOBAL__N_116_elemwise_kernelILi256ELi4EZNS1_43_compute_linear_combination_internal_kernelIN3c107complexIfEEEEvRNS_14TensorIteratorEiiiEUliE_EEviT1_
		.amdhsa_group_segment_fixed_size 0
		.amdhsa_private_segment_fixed_size 0
		.amdhsa_kernarg_size 440
		.amdhsa_user_sgpr_count 15
		.amdhsa_user_sgpr_dispatch_ptr 0
		.amdhsa_user_sgpr_queue_ptr 0
		.amdhsa_user_sgpr_kernarg_segment_ptr 1
		.amdhsa_user_sgpr_dispatch_id 0
		.amdhsa_user_sgpr_private_segment_size 0
		.amdhsa_wavefront_size32 1
		.amdhsa_uses_dynamic_stack 0
		.amdhsa_enable_private_segment 0
		.amdhsa_system_sgpr_workgroup_id_x 1
		.amdhsa_system_sgpr_workgroup_id_y 0
		.amdhsa_system_sgpr_workgroup_id_z 0
		.amdhsa_system_sgpr_workgroup_info 0
		.amdhsa_system_vgpr_workitem_id 0
		.amdhsa_next_free_vgpr 13
		.amdhsa_next_free_sgpr 46
		.amdhsa_reserve_vcc 1
		.amdhsa_float_round_mode_32 0
		.amdhsa_float_round_mode_16_64 0
		.amdhsa_float_denorm_mode_32 3
		.amdhsa_float_denorm_mode_16_64 3
		.amdhsa_dx10_clamp 1
		.amdhsa_ieee_mode 1
		.amdhsa_fp16_overflow 0
		.amdhsa_workgroup_processor_mode 1
		.amdhsa_memory_ordered 1
		.amdhsa_forward_progress 0
		.amdhsa_shared_vgpr_count 0
		.amdhsa_exception_fp_ieee_invalid_op 0
		.amdhsa_exception_fp_denorm_src 0
		.amdhsa_exception_fp_ieee_div_zero 0
		.amdhsa_exception_fp_ieee_overflow 0
		.amdhsa_exception_fp_ieee_underflow 0
		.amdhsa_exception_fp_ieee_inexact 0
		.amdhsa_exception_int_div_zero 0
	.end_amdhsa_kernel
	.section	.text._ZN2at6native12_GLOBAL__N_116_elemwise_kernelILi256ELi4EZNS1_43_compute_linear_combination_internal_kernelIN3c107complexIfEEEEvRNS_14TensorIteratorEiiiEUliE_EEviT1_,"axG",@progbits,_ZN2at6native12_GLOBAL__N_116_elemwise_kernelILi256ELi4EZNS1_43_compute_linear_combination_internal_kernelIN3c107complexIfEEEEvRNS_14TensorIteratorEiiiEUliE_EEviT1_,comdat
.Lfunc_end8:
	.size	_ZN2at6native12_GLOBAL__N_116_elemwise_kernelILi256ELi4EZNS1_43_compute_linear_combination_internal_kernelIN3c107complexIfEEEEvRNS_14TensorIteratorEiiiEUliE_EEviT1_, .Lfunc_end8-_ZN2at6native12_GLOBAL__N_116_elemwise_kernelILi256ELi4EZNS1_43_compute_linear_combination_internal_kernelIN3c107complexIfEEEEvRNS_14TensorIteratorEiiiEUliE_EEviT1_
                                        ; -- End function
	.section	.AMDGPU.csdata,"",@progbits
; Kernel info:
; codeLenInByte = 3448
; NumSgprs: 48
; NumVgprs: 13
; ScratchSize: 0
; MemoryBound: 0
; FloatMode: 240
; IeeeMode: 1
; LDSByteSize: 0 bytes/workgroup (compile time only)
; SGPRBlocks: 5
; VGPRBlocks: 1
; NumSGPRsForWavesPerEU: 48
; NumVGPRsForWavesPerEU: 13
; Occupancy: 16
; WaveLimiterHint : 1
; COMPUTE_PGM_RSRC2:SCRATCH_EN: 0
; COMPUTE_PGM_RSRC2:USER_SGPR: 15
; COMPUTE_PGM_RSRC2:TRAP_HANDLER: 0
; COMPUTE_PGM_RSRC2:TGID_X_EN: 1
; COMPUTE_PGM_RSRC2:TGID_Y_EN: 0
; COMPUTE_PGM_RSRC2:TGID_Z_EN: 0
; COMPUTE_PGM_RSRC2:TIDIG_COMP_CNT: 0
	.section	.text._ZN2at6native12_GLOBAL__N_116_elemwise_kernelILi256ELi4EZNS1_43_compute_linear_combination_internal_kernelIN3c104HalfEEEvRNS_14TensorIteratorEiiiEUliE_EEviT1_,"axG",@progbits,_ZN2at6native12_GLOBAL__N_116_elemwise_kernelILi256ELi4EZNS1_43_compute_linear_combination_internal_kernelIN3c104HalfEEEvRNS_14TensorIteratorEiiiEUliE_EEviT1_,comdat
	.globl	_ZN2at6native12_GLOBAL__N_116_elemwise_kernelILi256ELi4EZNS1_43_compute_linear_combination_internal_kernelIN3c104HalfEEEvRNS_14TensorIteratorEiiiEUliE_EEviT1_ ; -- Begin function _ZN2at6native12_GLOBAL__N_116_elemwise_kernelILi256ELi4EZNS1_43_compute_linear_combination_internal_kernelIN3c104HalfEEEvRNS_14TensorIteratorEiiiEUliE_EEviT1_
	.p2align	8
	.type	_ZN2at6native12_GLOBAL__N_116_elemwise_kernelILi256ELi4EZNS1_43_compute_linear_combination_internal_kernelIN3c104HalfEEEvRNS_14TensorIteratorEiiiEUliE_EEviT1_,@function
_ZN2at6native12_GLOBAL__N_116_elemwise_kernelILi256ELi4EZNS1_43_compute_linear_combination_internal_kernelIN3c104HalfEEEvRNS_14TensorIteratorEiiiEUliE_EEviT1_: ; @_ZN2at6native12_GLOBAL__N_116_elemwise_kernelILi256ELi4EZNS1_43_compute_linear_combination_internal_kernelIN3c104HalfEEEvRNS_14TensorIteratorEiiiEUliE_EEviT1_
; %bb.0:
	s_clause 0x6
	s_load_b256 s[4:11], s[0:1], 0x8
	s_load_b32 s31, s[0:1], 0x0
	s_load_b128 s[16:19], s[0:1], 0x1a8
	s_load_b128 s[24:27], s[0:1], 0xcc
	s_load_b64 s[12:13], s[0:1], 0xdc
	s_load_b64 s[2:3], s[0:1], 0x1a0
	s_load_b128 s[20:23], s[0:1], 0x190
	s_or_b32 s0, s0, 8
	v_lshl_or_b32 v6, s15, 10, v0
	s_waitcnt lgkmcnt(0)
	s_mov_b32 s19, -1
	s_mov_b32 s34, exec_lo
	s_add_i32 s11, s4, -1
	s_delay_alu instid0(SALU_CYCLE_1)
	s_cmp_gt_u32 s11, 1
	s_cselect_b32 s14, -1, 0
	s_cmp_lg_u32 s4, 0
	v_cndmask_b32_e64 v7, 0, 1, s14
	s_cselect_b32 s33, -1, 0
	s_min_u32 s30, s11, 15
	s_cmp_gt_u32 s4, 1
	s_cselect_b32 s11, -1, 0
	s_cmp_gt_i32 s16, 0
	s_cselect_b32 s4, -1, 0
	v_cmpx_gt_i32_e64 s31, v6
	s_cbranch_execnz .LBB9_4
; %bb.1:
	s_or_b32 exec_lo, exec_lo, s34
	s_delay_alu instid0(SALU_CYCLE_1)
	s_mov_b32 s34, exec_lo
	v_cmpx_gt_i32_e64 s31, v6
	s_cbranch_execnz .LBB9_18
.LBB9_2:
	s_or_b32 exec_lo, exec_lo, s34
	s_delay_alu instid0(SALU_CYCLE_1)
	s_mov_b32 s34, exec_lo
	v_cmpx_gt_i32_e64 s31, v6
	s_cbranch_execnz .LBB9_32
.LBB9_3:
	s_or_b32 exec_lo, exec_lo, s34
	s_delay_alu instid0(SALU_CYCLE_1)
	s_mov_b32 s14, exec_lo
	v_cmpx_gt_i32_e64 s31, v6
	s_cbranch_execnz .LBB9_46
	s_branch .LBB9_59
.LBB9_4:
	s_and_not1_b32 vcc_lo, exec_lo, s14
	s_cbranch_vccnz .LBB9_10
; %bb.5:
	v_dual_mov_b32 v2, 0 :: v_dual_mov_b32 v1, 0
	v_mov_b32_e32 v0, 0
	s_and_not1_b32 vcc_lo, exec_lo, s33
	s_mov_b32 s19, 0
	s_cbranch_vccnz .LBB9_11
; %bb.6:
	s_add_i32 s14, s30, 1
	v_dual_mov_b32 v0, 0 :: v_dual_mov_b32 v1, 0
	v_dual_mov_b32 v2, 0 :: v_dual_mov_b32 v3, v6
	s_and_b32 s28, s14, 30
	s_add_u32 s14, s0, 0xffffffec
	s_addc_u32 s15, s1, -1
	s_set_inst_prefetch_distance 0x1
	.p2align	6
.LBB9_7:                                ; =>This Inner Loop Header: Depth=1
	s_clause 0x2
	s_load_b128 s[36:39], s[14:15], 0x18
	s_load_b64 s[44:45], s[14:15], 0x28
	s_load_b128 s[40:43], s[14:15], 0xd8
	s_waitcnt lgkmcnt(0)
	v_mul_hi_u32 v4, s37, v3
	s_delay_alu instid0(VALU_DEP_1) | instskip(NEXT) | instid1(VALU_DEP_1)
	v_add_nc_u32_e32 v4, v3, v4
	v_lshrrev_b32_e32 v4, s38, v4
	s_delay_alu instid0(VALU_DEP_1)
	v_mul_hi_u32 v5, s44, v4
	v_mul_lo_u32 v8, v4, s36
	s_load_b64 s[36:37], s[14:15], 0xe8
	s_add_u32 s14, s14, 24
	s_addc_u32 s15, s15, 0
	s_add_i32 s28, s28, -2
	s_delay_alu instid0(SALU_CYCLE_1) | instskip(NEXT) | instid1(VALU_DEP_2)
	s_cmp_lg_u32 s28, 0
	v_add_nc_u32_e32 v5, v4, v5
	s_delay_alu instid0(VALU_DEP_2) | instskip(NEXT) | instid1(VALU_DEP_2)
	v_sub_nc_u32_e32 v8, v3, v8
	v_lshrrev_b32_e32 v3, s45, v5
	s_delay_alu instid0(VALU_DEP_2) | instskip(NEXT) | instid1(VALU_DEP_2)
	v_mul_lo_u32 v9, v8, s40
	v_mul_lo_u32 v5, v3, s39
	s_delay_alu instid0(VALU_DEP_1) | instskip(SKIP_2) | instid1(VALU_DEP_3)
	v_sub_nc_u32_e32 v4, v4, v5
	v_mul_lo_u32 v5, v8, s41
	v_mul_lo_u32 v8, v8, s42
	;; [unrolled: 1-line block ×3, first 2 shown]
	s_waitcnt lgkmcnt(0)
	v_mul_lo_u32 v11, v4, s36
	v_mul_lo_u32 v4, v4, s37
	s_delay_alu instid0(VALU_DEP_3) | instskip(NEXT) | instid1(VALU_DEP_3)
	v_add3_u32 v2, v9, v2, v10
	v_add3_u32 v1, v5, v1, v11
	s_delay_alu instid0(VALU_DEP_3)
	v_add3_u32 v0, v8, v0, v4
	s_cbranch_scc1 .LBB9_7
; %bb.8:
	s_set_inst_prefetch_distance 0x2
	s_bitcmp1_b32 s30, 0
	s_cselect_b32 s28, -1, 0
	s_delay_alu instid0(SALU_CYCLE_1)
	s_and_b32 vcc_lo, exec_lo, s28
	s_cbranch_vccnz .LBB9_11
; %bb.9:
	s_clause 0x3
	s_load_b64 s[28:29], s[14:15], 0x18
	s_load_b32 s35, s[14:15], 0x20
	s_load_b64 s[36:37], s[14:15], 0xd8
	s_load_b32 s14, s[14:15], 0xe0
	s_waitcnt lgkmcnt(0)
	v_mul_hi_u32 v4, s29, v3
	s_delay_alu instid0(VALU_DEP_1) | instskip(NEXT) | instid1(VALU_DEP_1)
	v_add_nc_u32_e32 v4, v3, v4
	v_lshrrev_b32_e32 v4, s35, v4
	s_delay_alu instid0(VALU_DEP_1) | instskip(NEXT) | instid1(VALU_DEP_1)
	v_mul_lo_u32 v4, v4, s28
	v_sub_nc_u32_e32 v10, v3, v4
	s_delay_alu instid0(VALU_DEP_1) | instskip(SKIP_2) | instid1(VALU_DEP_2)
	v_mad_u64_u32 v[3:4], null, v10, s36, v[2:3]
	v_mad_u64_u32 v[4:5], null, v10, s37, v[1:2]
	;; [unrolled: 1-line block ×3, first 2 shown]
	v_dual_mov_b32 v2, v3 :: v_dual_mov_b32 v1, v4
	s_delay_alu instid0(VALU_DEP_2)
	v_mov_b32_e32 v0, v8
	s_branch .LBB9_11
.LBB9_10:
                                        ; implicit-def: $vgpr2
                                        ; implicit-def: $vgpr1
                                        ; implicit-def: $vgpr0
.LBB9_11:
	s_and_not1_b32 vcc_lo, exec_lo, s19
	s_cbranch_vccnz .LBB9_14
; %bb.12:
	v_mul_hi_u32 v0, s6, v6
	s_and_not1_b32 vcc_lo, exec_lo, s11
	s_delay_alu instid0(VALU_DEP_1) | instskip(NEXT) | instid1(VALU_DEP_1)
	v_add_nc_u32_e32 v0, v6, v0
	v_lshrrev_b32_e32 v3, s7, v0
	s_delay_alu instid0(VALU_DEP_1) | instskip(NEXT) | instid1(VALU_DEP_1)
	v_mul_lo_u32 v0, v3, s5
	v_sub_nc_u32_e32 v0, v6, v0
	s_delay_alu instid0(VALU_DEP_1)
	v_mul_lo_u32 v2, v0, s24
	v_mul_lo_u32 v1, v0, s25
	;; [unrolled: 1-line block ×3, first 2 shown]
	s_cbranch_vccnz .LBB9_14
; %bb.13:
	v_mul_hi_u32 v4, s9, v3
	s_delay_alu instid0(VALU_DEP_1) | instskip(NEXT) | instid1(VALU_DEP_1)
	v_add_nc_u32_e32 v4, v3, v4
	v_lshrrev_b32_e32 v4, s10, v4
	s_delay_alu instid0(VALU_DEP_1) | instskip(NEXT) | instid1(VALU_DEP_1)
	v_mul_lo_u32 v4, v4, s8
	v_sub_nc_u32_e32 v10, v3, v4
	s_delay_alu instid0(VALU_DEP_1) | instskip(SKIP_2) | instid1(VALU_DEP_2)
	v_mad_u64_u32 v[3:4], null, v10, s27, v[2:3]
	v_mad_u64_u32 v[4:5], null, v10, s12, v[1:2]
	;; [unrolled: 1-line block ×3, first 2 shown]
	v_dual_mov_b32 v2, v3 :: v_dual_mov_b32 v1, v4
	s_delay_alu instid0(VALU_DEP_2)
	v_mov_b32_e32 v0, v8
.LBB9_14:
	s_and_not1_b32 vcc_lo, exec_lo, s4
	s_cbranch_vccnz .LBB9_17
; %bb.15:
	global_load_u16 v8, v2, s[20:21]
	v_add_co_u32 v2, s14, s20, v2
	s_delay_alu instid0(VALU_DEP_1) | instskip(SKIP_1) | instid1(VALU_DEP_1)
	v_add_co_ci_u32_e64 v3, null, s21, 0, s14
	v_add_co_u32 v4, s14, s22, v1
	v_add_co_ci_u32_e64 v5, null, s23, 0, s14
	v_add_co_u32 v0, s14, s2, v0
	s_delay_alu instid0(VALU_DEP_1)
	v_add_co_ci_u32_e64 v1, null, s3, 0, s14
	s_ashr_i32 s19, s18, 31
	s_ashr_i32 s29, s17, 31
	s_mov_b32 s28, s17
	s_lshl_b64 s[14:15], s[18:19], 1
	s_lshl_b64 s[28:29], s[28:29], 1
	s_mov_b32 s19, s16
.LBB9_16:                               ; =>This Inner Loop Header: Depth=1
	global_load_u16 v9, v[4:5], off
	global_load_u16 v10, v[0:1], off
	v_add_co_u32 v0, vcc_lo, v0, s14
	v_add_co_ci_u32_e32 v1, vcc_lo, s15, v1, vcc_lo
	v_add_co_u32 v4, vcc_lo, v4, s28
	v_add_co_ci_u32_e32 v5, vcc_lo, s29, v5, vcc_lo
	s_add_i32 s19, s19, -1
	s_delay_alu instid0(SALU_CYCLE_1)
	s_cmp_lg_u32 s19, 0
	s_waitcnt vmcnt(0)
	v_fmac_f16_e32 v8, v9, v10
	global_store_b16 v[2:3], v8, off
	s_cbranch_scc1 .LBB9_16
.LBB9_17:
	v_add_nc_u32_e32 v6, 0x100, v6
	s_or_b32 exec_lo, exec_lo, s34
	s_delay_alu instid0(SALU_CYCLE_1) | instskip(NEXT) | instid1(VALU_DEP_1)
	s_mov_b32 s34, exec_lo
	v_cmpx_gt_i32_e64 s31, v6
	s_cbranch_execz .LBB9_2
.LBB9_18:
	v_cmp_ne_u32_e32 vcc_lo, 1, v7
	s_cbranch_vccnz .LBB9_24
; %bb.19:
	v_dual_mov_b32 v2, 0 :: v_dual_mov_b32 v1, 0
	v_mov_b32_e32 v0, 0
	s_and_not1_b32 vcc_lo, exec_lo, s33
	s_mov_b32 s19, 0
	s_cbranch_vccnz .LBB9_25
; %bb.20:
	s_add_i32 s14, s30, 1
	v_dual_mov_b32 v0, 0 :: v_dual_mov_b32 v1, 0
	v_dual_mov_b32 v2, 0 :: v_dual_mov_b32 v3, v6
	s_and_b32 s28, s14, 30
	s_add_u32 s14, s0, 0xffffffec
	s_addc_u32 s15, s1, -1
	s_set_inst_prefetch_distance 0x1
	.p2align	6
.LBB9_21:                               ; =>This Inner Loop Header: Depth=1
	s_clause 0x2
	s_load_b128 s[36:39], s[14:15], 0x18
	s_load_b64 s[44:45], s[14:15], 0x28
	s_load_b128 s[40:43], s[14:15], 0xd8
	s_waitcnt lgkmcnt(0)
	v_mul_hi_u32 v4, s37, v3
	s_delay_alu instid0(VALU_DEP_1) | instskip(NEXT) | instid1(VALU_DEP_1)
	v_add_nc_u32_e32 v4, v3, v4
	v_lshrrev_b32_e32 v4, s38, v4
	s_delay_alu instid0(VALU_DEP_1)
	v_mul_hi_u32 v5, s44, v4
	v_mul_lo_u32 v8, v4, s36
	s_load_b64 s[36:37], s[14:15], 0xe8
	s_add_u32 s14, s14, 24
	s_addc_u32 s15, s15, 0
	s_add_i32 s28, s28, -2
	s_delay_alu instid0(SALU_CYCLE_1) | instskip(NEXT) | instid1(VALU_DEP_2)
	s_cmp_eq_u32 s28, 0
	v_add_nc_u32_e32 v5, v4, v5
	s_delay_alu instid0(VALU_DEP_2) | instskip(NEXT) | instid1(VALU_DEP_2)
	v_sub_nc_u32_e32 v8, v3, v8
	v_lshrrev_b32_e32 v3, s45, v5
	s_delay_alu instid0(VALU_DEP_2) | instskip(NEXT) | instid1(VALU_DEP_2)
	v_mul_lo_u32 v9, v8, s40
	v_mul_lo_u32 v5, v3, s39
	s_delay_alu instid0(VALU_DEP_1) | instskip(SKIP_2) | instid1(VALU_DEP_3)
	v_sub_nc_u32_e32 v4, v4, v5
	v_mul_lo_u32 v5, v8, s41
	v_mul_lo_u32 v8, v8, s42
	;; [unrolled: 1-line block ×3, first 2 shown]
	s_waitcnt lgkmcnt(0)
	v_mul_lo_u32 v11, v4, s36
	v_mul_lo_u32 v4, v4, s37
	s_delay_alu instid0(VALU_DEP_3) | instskip(NEXT) | instid1(VALU_DEP_3)
	v_add3_u32 v2, v9, v2, v10
	v_add3_u32 v1, v5, v1, v11
	s_delay_alu instid0(VALU_DEP_3)
	v_add3_u32 v0, v8, v0, v4
	s_cbranch_scc0 .LBB9_21
; %bb.22:
	s_set_inst_prefetch_distance 0x2
	s_bitcmp1_b32 s30, 0
	s_cselect_b32 s28, -1, 0
	s_delay_alu instid0(SALU_CYCLE_1)
	s_and_b32 vcc_lo, exec_lo, s28
	s_cbranch_vccnz .LBB9_25
; %bb.23:
	s_clause 0x3
	s_load_b64 s[28:29], s[14:15], 0x18
	s_load_b32 s35, s[14:15], 0x20
	s_load_b64 s[36:37], s[14:15], 0xd8
	s_load_b32 s14, s[14:15], 0xe0
	s_waitcnt lgkmcnt(0)
	v_mul_hi_u32 v4, s29, v3
	s_delay_alu instid0(VALU_DEP_1) | instskip(NEXT) | instid1(VALU_DEP_1)
	v_add_nc_u32_e32 v4, v3, v4
	v_lshrrev_b32_e32 v4, s35, v4
	s_delay_alu instid0(VALU_DEP_1) | instskip(NEXT) | instid1(VALU_DEP_1)
	v_mul_lo_u32 v4, v4, s28
	v_sub_nc_u32_e32 v10, v3, v4
	s_delay_alu instid0(VALU_DEP_1) | instskip(SKIP_2) | instid1(VALU_DEP_2)
	v_mad_u64_u32 v[3:4], null, v10, s36, v[2:3]
	v_mad_u64_u32 v[4:5], null, v10, s37, v[1:2]
	;; [unrolled: 1-line block ×3, first 2 shown]
	v_dual_mov_b32 v2, v3 :: v_dual_mov_b32 v1, v4
	s_delay_alu instid0(VALU_DEP_2)
	v_mov_b32_e32 v0, v8
	s_branch .LBB9_25
.LBB9_24:
	s_mov_b32 s19, -1
                                        ; implicit-def: $vgpr2
                                        ; implicit-def: $vgpr1
                                        ; implicit-def: $vgpr0
.LBB9_25:
	s_delay_alu instid0(SALU_CYCLE_1)
	s_and_not1_b32 vcc_lo, exec_lo, s19
	s_cbranch_vccnz .LBB9_28
; %bb.26:
	v_mul_hi_u32 v0, s6, v6
	s_and_not1_b32 vcc_lo, exec_lo, s11
	s_delay_alu instid0(VALU_DEP_1) | instskip(NEXT) | instid1(VALU_DEP_1)
	v_add_nc_u32_e32 v0, v6, v0
	v_lshrrev_b32_e32 v3, s7, v0
	s_delay_alu instid0(VALU_DEP_1) | instskip(NEXT) | instid1(VALU_DEP_1)
	v_mul_lo_u32 v0, v3, s5
	v_sub_nc_u32_e32 v0, v6, v0
	s_delay_alu instid0(VALU_DEP_1)
	v_mul_lo_u32 v2, v0, s24
	v_mul_lo_u32 v1, v0, s25
	;; [unrolled: 1-line block ×3, first 2 shown]
	s_cbranch_vccnz .LBB9_28
; %bb.27:
	v_mul_hi_u32 v4, s9, v3
	s_delay_alu instid0(VALU_DEP_1) | instskip(NEXT) | instid1(VALU_DEP_1)
	v_add_nc_u32_e32 v4, v3, v4
	v_lshrrev_b32_e32 v4, s10, v4
	s_delay_alu instid0(VALU_DEP_1) | instskip(NEXT) | instid1(VALU_DEP_1)
	v_mul_lo_u32 v4, v4, s8
	v_sub_nc_u32_e32 v10, v3, v4
	s_delay_alu instid0(VALU_DEP_1) | instskip(SKIP_2) | instid1(VALU_DEP_2)
	v_mad_u64_u32 v[3:4], null, v10, s27, v[2:3]
	v_mad_u64_u32 v[4:5], null, v10, s12, v[1:2]
	;; [unrolled: 1-line block ×3, first 2 shown]
	v_dual_mov_b32 v2, v3 :: v_dual_mov_b32 v1, v4
	s_delay_alu instid0(VALU_DEP_2)
	v_mov_b32_e32 v0, v8
.LBB9_28:
	s_and_not1_b32 vcc_lo, exec_lo, s4
	s_cbranch_vccnz .LBB9_31
; %bb.29:
	global_load_u16 v8, v2, s[20:21]
	v_add_co_u32 v2, s14, s20, v2
	s_delay_alu instid0(VALU_DEP_1) | instskip(SKIP_1) | instid1(VALU_DEP_1)
	v_add_co_ci_u32_e64 v3, null, s21, 0, s14
	v_add_co_u32 v4, s14, s22, v1
	v_add_co_ci_u32_e64 v5, null, s23, 0, s14
	v_add_co_u32 v0, s14, s2, v0
	s_delay_alu instid0(VALU_DEP_1)
	v_add_co_ci_u32_e64 v1, null, s3, 0, s14
	s_ashr_i32 s19, s18, 31
	s_ashr_i32 s29, s17, 31
	s_mov_b32 s28, s17
	s_lshl_b64 s[14:15], s[18:19], 1
	s_lshl_b64 s[28:29], s[28:29], 1
	s_mov_b32 s19, s16
.LBB9_30:                               ; =>This Inner Loop Header: Depth=1
	global_load_u16 v9, v[4:5], off
	global_load_u16 v10, v[0:1], off
	v_add_co_u32 v0, vcc_lo, v0, s14
	v_add_co_ci_u32_e32 v1, vcc_lo, s15, v1, vcc_lo
	v_add_co_u32 v4, vcc_lo, v4, s28
	v_add_co_ci_u32_e32 v5, vcc_lo, s29, v5, vcc_lo
	s_add_i32 s19, s19, -1
	s_delay_alu instid0(SALU_CYCLE_1)
	s_cmp_lg_u32 s19, 0
	s_waitcnt vmcnt(0)
	v_fmac_f16_e32 v8, v9, v10
	global_store_b16 v[2:3], v8, off
	s_cbranch_scc1 .LBB9_30
.LBB9_31:
	v_add_nc_u32_e32 v6, 0x100, v6
	s_or_b32 exec_lo, exec_lo, s34
	s_delay_alu instid0(SALU_CYCLE_1) | instskip(NEXT) | instid1(VALU_DEP_1)
	s_mov_b32 s34, exec_lo
	v_cmpx_gt_i32_e64 s31, v6
	s_cbranch_execz .LBB9_3
.LBB9_32:
	v_cmp_ne_u32_e32 vcc_lo, 1, v7
	s_cbranch_vccnz .LBB9_38
; %bb.33:
	v_dual_mov_b32 v2, 0 :: v_dual_mov_b32 v1, 0
	v_mov_b32_e32 v0, 0
	s_and_not1_b32 vcc_lo, exec_lo, s33
	s_mov_b32 s19, 0
	s_cbranch_vccnz .LBB9_39
; %bb.34:
	s_add_i32 s14, s30, 1
	v_dual_mov_b32 v0, 0 :: v_dual_mov_b32 v1, 0
	v_dual_mov_b32 v2, 0 :: v_dual_mov_b32 v3, v6
	s_and_b32 s28, s14, 30
	s_add_u32 s14, s0, 0xffffffec
	s_addc_u32 s15, s1, -1
	s_set_inst_prefetch_distance 0x1
	.p2align	6
.LBB9_35:                               ; =>This Inner Loop Header: Depth=1
	s_clause 0x2
	s_load_b128 s[36:39], s[14:15], 0x18
	s_load_b64 s[44:45], s[14:15], 0x28
	s_load_b128 s[40:43], s[14:15], 0xd8
	s_waitcnt lgkmcnt(0)
	v_mul_hi_u32 v4, s37, v3
	s_delay_alu instid0(VALU_DEP_1) | instskip(NEXT) | instid1(VALU_DEP_1)
	v_add_nc_u32_e32 v4, v3, v4
	v_lshrrev_b32_e32 v4, s38, v4
	s_delay_alu instid0(VALU_DEP_1)
	v_mul_hi_u32 v5, s44, v4
	v_mul_lo_u32 v8, v4, s36
	s_load_b64 s[36:37], s[14:15], 0xe8
	s_add_u32 s14, s14, 24
	s_addc_u32 s15, s15, 0
	s_add_i32 s28, s28, -2
	s_delay_alu instid0(SALU_CYCLE_1) | instskip(NEXT) | instid1(VALU_DEP_2)
	s_cmp_eq_u32 s28, 0
	v_add_nc_u32_e32 v5, v4, v5
	s_delay_alu instid0(VALU_DEP_2) | instskip(NEXT) | instid1(VALU_DEP_2)
	v_sub_nc_u32_e32 v8, v3, v8
	v_lshrrev_b32_e32 v3, s45, v5
	s_delay_alu instid0(VALU_DEP_2) | instskip(NEXT) | instid1(VALU_DEP_2)
	v_mul_lo_u32 v9, v8, s40
	v_mul_lo_u32 v5, v3, s39
	s_delay_alu instid0(VALU_DEP_1) | instskip(SKIP_2) | instid1(VALU_DEP_3)
	v_sub_nc_u32_e32 v4, v4, v5
	v_mul_lo_u32 v5, v8, s41
	v_mul_lo_u32 v8, v8, s42
	;; [unrolled: 1-line block ×3, first 2 shown]
	s_waitcnt lgkmcnt(0)
	v_mul_lo_u32 v11, v4, s36
	v_mul_lo_u32 v4, v4, s37
	s_delay_alu instid0(VALU_DEP_3) | instskip(NEXT) | instid1(VALU_DEP_3)
	v_add3_u32 v2, v9, v2, v10
	v_add3_u32 v1, v5, v1, v11
	s_delay_alu instid0(VALU_DEP_3)
	v_add3_u32 v0, v8, v0, v4
	s_cbranch_scc0 .LBB9_35
; %bb.36:
	s_set_inst_prefetch_distance 0x2
	s_bitcmp1_b32 s30, 0
	s_cselect_b32 s28, -1, 0
	s_delay_alu instid0(SALU_CYCLE_1)
	s_and_b32 vcc_lo, exec_lo, s28
	s_cbranch_vccnz .LBB9_39
; %bb.37:
	s_clause 0x3
	s_load_b64 s[28:29], s[14:15], 0x18
	s_load_b32 s35, s[14:15], 0x20
	s_load_b64 s[36:37], s[14:15], 0xd8
	s_load_b32 s14, s[14:15], 0xe0
	s_waitcnt lgkmcnt(0)
	v_mul_hi_u32 v4, s29, v3
	s_delay_alu instid0(VALU_DEP_1) | instskip(NEXT) | instid1(VALU_DEP_1)
	v_add_nc_u32_e32 v4, v3, v4
	v_lshrrev_b32_e32 v4, s35, v4
	s_delay_alu instid0(VALU_DEP_1) | instskip(NEXT) | instid1(VALU_DEP_1)
	v_mul_lo_u32 v4, v4, s28
	v_sub_nc_u32_e32 v10, v3, v4
	s_delay_alu instid0(VALU_DEP_1) | instskip(SKIP_2) | instid1(VALU_DEP_2)
	v_mad_u64_u32 v[3:4], null, v10, s36, v[2:3]
	v_mad_u64_u32 v[4:5], null, v10, s37, v[1:2]
	;; [unrolled: 1-line block ×3, first 2 shown]
	v_dual_mov_b32 v2, v3 :: v_dual_mov_b32 v1, v4
	s_delay_alu instid0(VALU_DEP_2)
	v_mov_b32_e32 v0, v8
	s_branch .LBB9_39
.LBB9_38:
	s_mov_b32 s19, -1
                                        ; implicit-def: $vgpr2
                                        ; implicit-def: $vgpr1
                                        ; implicit-def: $vgpr0
.LBB9_39:
	s_delay_alu instid0(SALU_CYCLE_1)
	s_and_not1_b32 vcc_lo, exec_lo, s19
	s_cbranch_vccnz .LBB9_42
; %bb.40:
	v_mul_hi_u32 v0, s6, v6
	s_and_not1_b32 vcc_lo, exec_lo, s11
	s_delay_alu instid0(VALU_DEP_1) | instskip(NEXT) | instid1(VALU_DEP_1)
	v_add_nc_u32_e32 v0, v6, v0
	v_lshrrev_b32_e32 v3, s7, v0
	s_delay_alu instid0(VALU_DEP_1) | instskip(NEXT) | instid1(VALU_DEP_1)
	v_mul_lo_u32 v0, v3, s5
	v_sub_nc_u32_e32 v0, v6, v0
	s_delay_alu instid0(VALU_DEP_1)
	v_mul_lo_u32 v2, v0, s24
	v_mul_lo_u32 v1, v0, s25
	;; [unrolled: 1-line block ×3, first 2 shown]
	s_cbranch_vccnz .LBB9_42
; %bb.41:
	v_mul_hi_u32 v4, s9, v3
	s_delay_alu instid0(VALU_DEP_1) | instskip(NEXT) | instid1(VALU_DEP_1)
	v_add_nc_u32_e32 v4, v3, v4
	v_lshrrev_b32_e32 v4, s10, v4
	s_delay_alu instid0(VALU_DEP_1) | instskip(NEXT) | instid1(VALU_DEP_1)
	v_mul_lo_u32 v4, v4, s8
	v_sub_nc_u32_e32 v10, v3, v4
	s_delay_alu instid0(VALU_DEP_1) | instskip(SKIP_2) | instid1(VALU_DEP_2)
	v_mad_u64_u32 v[3:4], null, v10, s27, v[2:3]
	v_mad_u64_u32 v[4:5], null, v10, s12, v[1:2]
	;; [unrolled: 1-line block ×3, first 2 shown]
	v_dual_mov_b32 v2, v3 :: v_dual_mov_b32 v1, v4
	s_delay_alu instid0(VALU_DEP_2)
	v_mov_b32_e32 v0, v8
.LBB9_42:
	s_and_not1_b32 vcc_lo, exec_lo, s4
	s_cbranch_vccnz .LBB9_45
; %bb.43:
	global_load_u16 v8, v2, s[20:21]
	v_add_co_u32 v2, s14, s20, v2
	s_delay_alu instid0(VALU_DEP_1) | instskip(SKIP_1) | instid1(VALU_DEP_1)
	v_add_co_ci_u32_e64 v3, null, s21, 0, s14
	v_add_co_u32 v4, s14, s22, v1
	v_add_co_ci_u32_e64 v5, null, s23, 0, s14
	v_add_co_u32 v0, s14, s2, v0
	s_delay_alu instid0(VALU_DEP_1)
	v_add_co_ci_u32_e64 v1, null, s3, 0, s14
	s_ashr_i32 s19, s18, 31
	s_ashr_i32 s29, s17, 31
	s_mov_b32 s28, s17
	s_lshl_b64 s[14:15], s[18:19], 1
	s_lshl_b64 s[28:29], s[28:29], 1
	s_mov_b32 s19, s16
.LBB9_44:                               ; =>This Inner Loop Header: Depth=1
	global_load_u16 v9, v[4:5], off
	global_load_u16 v10, v[0:1], off
	v_add_co_u32 v0, vcc_lo, v0, s14
	v_add_co_ci_u32_e32 v1, vcc_lo, s15, v1, vcc_lo
	v_add_co_u32 v4, vcc_lo, v4, s28
	v_add_co_ci_u32_e32 v5, vcc_lo, s29, v5, vcc_lo
	s_add_i32 s19, s19, -1
	s_delay_alu instid0(SALU_CYCLE_1)
	s_cmp_lg_u32 s19, 0
	s_waitcnt vmcnt(0)
	v_fmac_f16_e32 v8, v9, v10
	global_store_b16 v[2:3], v8, off
	s_cbranch_scc1 .LBB9_44
.LBB9_45:
	v_add_nc_u32_e32 v6, 0x100, v6
	s_or_b32 exec_lo, exec_lo, s34
	s_delay_alu instid0(SALU_CYCLE_1) | instskip(NEXT) | instid1(VALU_DEP_1)
	s_mov_b32 s14, exec_lo
	v_cmpx_gt_i32_e64 s31, v6
	s_cbranch_execz .LBB9_59
.LBB9_46:
	v_cmp_ne_u32_e32 vcc_lo, 1, v7
	s_cbranch_vccnz .LBB9_52
; %bb.47:
	v_dual_mov_b32 v2, 0 :: v_dual_mov_b32 v1, 0
	v_mov_b32_e32 v0, 0
	s_and_not1_b32 vcc_lo, exec_lo, s33
	s_mov_b32 s14, 0
	s_cbranch_vccnz .LBB9_53
; %bb.48:
	s_add_i32 s15, s30, 1
	v_dual_mov_b32 v0, 0 :: v_dual_mov_b32 v1, 0
	v_dual_mov_b32 v2, 0 :: v_dual_mov_b32 v3, v6
	s_and_b32 s15, s15, 30
	s_add_u32 s0, s0, 0xffffffec
	s_addc_u32 s1, s1, -1
	s_set_inst_prefetch_distance 0x1
	.p2align	6
.LBB9_49:                               ; =>This Inner Loop Header: Depth=1
	s_clause 0x3
	s_load_b128 s[36:39], s[0:1], 0x18
	s_load_b64 s[28:29], s[0:1], 0x28
	s_load_b128 s[40:43], s[0:1], 0xd8
	s_load_b64 s[34:35], s[0:1], 0xe8
	s_add_u32 s0, s0, 24
	s_addc_u32 s1, s1, 0
	s_add_i32 s15, s15, -2
	s_delay_alu instid0(SALU_CYCLE_1) | instskip(SKIP_2) | instid1(VALU_DEP_1)
	s_cmp_eq_u32 s15, 0
	s_waitcnt lgkmcnt(0)
	v_mul_hi_u32 v4, s37, v3
	v_add_nc_u32_e32 v4, v3, v4
	s_delay_alu instid0(VALU_DEP_1) | instskip(NEXT) | instid1(VALU_DEP_1)
	v_lshrrev_b32_e32 v4, s38, v4
	v_mul_hi_u32 v5, s28, v4
	v_mul_lo_u32 v7, v4, s36
	s_delay_alu instid0(VALU_DEP_2) | instskip(NEXT) | instid1(VALU_DEP_2)
	v_add_nc_u32_e32 v5, v4, v5
	v_sub_nc_u32_e32 v7, v3, v7
	s_delay_alu instid0(VALU_DEP_2) | instskip(NEXT) | instid1(VALU_DEP_2)
	v_lshrrev_b32_e32 v3, s29, v5
	v_mul_lo_u32 v8, v7, s40
	s_delay_alu instid0(VALU_DEP_2) | instskip(NEXT) | instid1(VALU_DEP_1)
	v_mul_lo_u32 v5, v3, s39
	v_sub_nc_u32_e32 v4, v4, v5
	v_mul_lo_u32 v5, v7, s41
	v_mul_lo_u32 v7, v7, s42
	s_delay_alu instid0(VALU_DEP_3) | instskip(SKIP_2) | instid1(VALU_DEP_3)
	v_mul_lo_u32 v9, v4, s43
	v_mul_lo_u32 v10, v4, s34
	;; [unrolled: 1-line block ×3, first 2 shown]
	v_add3_u32 v2, v8, v2, v9
	s_delay_alu instid0(VALU_DEP_3) | instskip(NEXT) | instid1(VALU_DEP_3)
	v_add3_u32 v1, v5, v1, v10
	v_add3_u32 v0, v7, v0, v4
	s_cbranch_scc0 .LBB9_49
; %bb.50:
	s_set_inst_prefetch_distance 0x2
	s_bitcmp1_b32 s30, 0
	s_cselect_b32 s15, -1, 0
	s_delay_alu instid0(SALU_CYCLE_1)
	s_and_b32 vcc_lo, exec_lo, s15
	s_cbranch_vccnz .LBB9_53
; %bb.51:
	s_clause 0x3
	s_load_b64 s[28:29], s[0:1], 0x18
	s_load_b32 s15, s[0:1], 0x20
	s_load_b64 s[30:31], s[0:1], 0xd8
	s_load_b32 s0, s[0:1], 0xe0
	s_waitcnt lgkmcnt(0)
	v_mul_hi_u32 v4, s29, v3
	s_delay_alu instid0(VALU_DEP_1) | instskip(NEXT) | instid1(VALU_DEP_1)
	v_add_nc_u32_e32 v4, v3, v4
	v_lshrrev_b32_e32 v4, s15, v4
	s_delay_alu instid0(VALU_DEP_1) | instskip(NEXT) | instid1(VALU_DEP_1)
	v_mul_lo_u32 v4, v4, s28
	v_sub_nc_u32_e32 v9, v3, v4
	s_delay_alu instid0(VALU_DEP_1) | instskip(SKIP_2) | instid1(VALU_DEP_2)
	v_mad_u64_u32 v[3:4], null, v9, s30, v[2:3]
	v_mad_u64_u32 v[4:5], null, v9, s31, v[1:2]
	;; [unrolled: 1-line block ×3, first 2 shown]
	v_dual_mov_b32 v2, v3 :: v_dual_mov_b32 v1, v4
	s_delay_alu instid0(VALU_DEP_2)
	v_mov_b32_e32 v0, v7
	s_branch .LBB9_53
.LBB9_52:
	s_mov_b32 s14, -1
                                        ; implicit-def: $vgpr2
                                        ; implicit-def: $vgpr1
                                        ; implicit-def: $vgpr0
.LBB9_53:
	s_delay_alu instid0(SALU_CYCLE_1)
	s_and_not1_b32 vcc_lo, exec_lo, s14
	s_cbranch_vccnz .LBB9_56
; %bb.54:
	v_mul_hi_u32 v0, s6, v6
	s_and_not1_b32 vcc_lo, exec_lo, s11
	s_delay_alu instid0(VALU_DEP_1) | instskip(NEXT) | instid1(VALU_DEP_1)
	v_add_nc_u32_e32 v0, v6, v0
	v_lshrrev_b32_e32 v3, s7, v0
	s_delay_alu instid0(VALU_DEP_1) | instskip(NEXT) | instid1(VALU_DEP_1)
	v_mul_lo_u32 v0, v3, s5
	v_sub_nc_u32_e32 v0, v6, v0
	s_delay_alu instid0(VALU_DEP_1)
	v_mul_lo_u32 v2, v0, s24
	v_mul_lo_u32 v1, v0, s25
	;; [unrolled: 1-line block ×3, first 2 shown]
	s_cbranch_vccnz .LBB9_56
; %bb.55:
	v_mul_hi_u32 v4, s9, v3
	s_delay_alu instid0(VALU_DEP_1) | instskip(NEXT) | instid1(VALU_DEP_1)
	v_add_nc_u32_e32 v4, v3, v4
	v_lshrrev_b32_e32 v4, s10, v4
	s_delay_alu instid0(VALU_DEP_1) | instskip(NEXT) | instid1(VALU_DEP_1)
	v_mul_lo_u32 v4, v4, s8
	v_sub_nc_u32_e32 v7, v3, v4
	s_delay_alu instid0(VALU_DEP_1) | instskip(SKIP_2) | instid1(VALU_DEP_2)
	v_mad_u64_u32 v[3:4], null, v7, s27, v[2:3]
	v_mad_u64_u32 v[4:5], null, v7, s12, v[1:2]
	;; [unrolled: 1-line block ×3, first 2 shown]
	v_dual_mov_b32 v2, v3 :: v_dual_mov_b32 v1, v4
	s_delay_alu instid0(VALU_DEP_2)
	v_mov_b32_e32 v0, v5
.LBB9_56:
	s_and_not1_b32 vcc_lo, exec_lo, s4
	s_cbranch_vccnz .LBB9_59
; %bb.57:
	global_load_u16 v6, v2, s[20:21]
	v_add_co_u32 v2, s0, s20, v2
	s_delay_alu instid0(VALU_DEP_1) | instskip(SKIP_1) | instid1(VALU_DEP_1)
	v_add_co_ci_u32_e64 v3, null, s21, 0, s0
	v_add_co_u32 v4, s0, s22, v1
	v_add_co_ci_u32_e64 v5, null, s23, 0, s0
	v_add_co_u32 v0, s0, s2, v0
	s_delay_alu instid0(VALU_DEP_1)
	v_add_co_ci_u32_e64 v1, null, s3, 0, s0
	s_ashr_i32 s19, s18, 31
	s_ashr_i32 s3, s17, 31
	s_mov_b32 s2, s17
	s_lshl_b64 s[0:1], s[18:19], 1
	s_lshl_b64 s[2:3], s[2:3], 1
.LBB9_58:                               ; =>This Inner Loop Header: Depth=1
	global_load_u16 v7, v[4:5], off
	global_load_u16 v8, v[0:1], off
	v_add_co_u32 v0, vcc_lo, v0, s0
	v_add_co_ci_u32_e32 v1, vcc_lo, s1, v1, vcc_lo
	v_add_co_u32 v4, vcc_lo, v4, s2
	v_add_co_ci_u32_e32 v5, vcc_lo, s3, v5, vcc_lo
	s_add_i32 s16, s16, -1
	s_delay_alu instid0(SALU_CYCLE_1)
	s_cmp_lg_u32 s16, 0
	s_waitcnt vmcnt(0)
	v_fmac_f16_e32 v6, v7, v8
	global_store_b16 v[2:3], v6, off
	s_cbranch_scc1 .LBB9_58
.LBB9_59:
	s_nop 0
	s_sendmsg sendmsg(MSG_DEALLOC_VGPRS)
	s_endpgm
	.section	.rodata,"a",@progbits
	.p2align	6, 0x0
	.amdhsa_kernel _ZN2at6native12_GLOBAL__N_116_elemwise_kernelILi256ELi4EZNS1_43_compute_linear_combination_internal_kernelIN3c104HalfEEEvRNS_14TensorIteratorEiiiEUliE_EEviT1_
		.amdhsa_group_segment_fixed_size 0
		.amdhsa_private_segment_fixed_size 0
		.amdhsa_kernarg_size 440
		.amdhsa_user_sgpr_count 15
		.amdhsa_user_sgpr_dispatch_ptr 0
		.amdhsa_user_sgpr_queue_ptr 0
		.amdhsa_user_sgpr_kernarg_segment_ptr 1
		.amdhsa_user_sgpr_dispatch_id 0
		.amdhsa_user_sgpr_private_segment_size 0
		.amdhsa_wavefront_size32 1
		.amdhsa_uses_dynamic_stack 0
		.amdhsa_enable_private_segment 0
		.amdhsa_system_sgpr_workgroup_id_x 1
		.amdhsa_system_sgpr_workgroup_id_y 0
		.amdhsa_system_sgpr_workgroup_id_z 0
		.amdhsa_system_sgpr_workgroup_info 0
		.amdhsa_system_vgpr_workitem_id 0
		.amdhsa_next_free_vgpr 12
		.amdhsa_next_free_sgpr 46
		.amdhsa_reserve_vcc 1
		.amdhsa_float_round_mode_32 0
		.amdhsa_float_round_mode_16_64 0
		.amdhsa_float_denorm_mode_32 3
		.amdhsa_float_denorm_mode_16_64 3
		.amdhsa_dx10_clamp 1
		.amdhsa_ieee_mode 1
		.amdhsa_fp16_overflow 0
		.amdhsa_workgroup_processor_mode 1
		.amdhsa_memory_ordered 1
		.amdhsa_forward_progress 0
		.amdhsa_shared_vgpr_count 0
		.amdhsa_exception_fp_ieee_invalid_op 0
		.amdhsa_exception_fp_denorm_src 0
		.amdhsa_exception_fp_ieee_div_zero 0
		.amdhsa_exception_fp_ieee_overflow 0
		.amdhsa_exception_fp_ieee_underflow 0
		.amdhsa_exception_fp_ieee_inexact 0
		.amdhsa_exception_int_div_zero 0
	.end_amdhsa_kernel
	.section	.text._ZN2at6native12_GLOBAL__N_116_elemwise_kernelILi256ELi4EZNS1_43_compute_linear_combination_internal_kernelIN3c104HalfEEEvRNS_14TensorIteratorEiiiEUliE_EEviT1_,"axG",@progbits,_ZN2at6native12_GLOBAL__N_116_elemwise_kernelILi256ELi4EZNS1_43_compute_linear_combination_internal_kernelIN3c104HalfEEEvRNS_14TensorIteratorEiiiEUliE_EEviT1_,comdat
.Lfunc_end9:
	.size	_ZN2at6native12_GLOBAL__N_116_elemwise_kernelILi256ELi4EZNS1_43_compute_linear_combination_internal_kernelIN3c104HalfEEEvRNS_14TensorIteratorEiiiEUliE_EEviT1_, .Lfunc_end9-_ZN2at6native12_GLOBAL__N_116_elemwise_kernelILi256ELi4EZNS1_43_compute_linear_combination_internal_kernelIN3c104HalfEEEvRNS_14TensorIteratorEiiiEUliE_EEviT1_
                                        ; -- End function
	.section	.AMDGPU.csdata,"",@progbits
; Kernel info:
; codeLenInByte = 3432
; NumSgprs: 48
; NumVgprs: 12
; ScratchSize: 0
; MemoryBound: 0
; FloatMode: 240
; IeeeMode: 1
; LDSByteSize: 0 bytes/workgroup (compile time only)
; SGPRBlocks: 5
; VGPRBlocks: 1
; NumSGPRsForWavesPerEU: 48
; NumVGPRsForWavesPerEU: 12
; Occupancy: 16
; WaveLimiterHint : 1
; COMPUTE_PGM_RSRC2:SCRATCH_EN: 0
; COMPUTE_PGM_RSRC2:USER_SGPR: 15
; COMPUTE_PGM_RSRC2:TRAP_HANDLER: 0
; COMPUTE_PGM_RSRC2:TGID_X_EN: 1
; COMPUTE_PGM_RSRC2:TGID_Y_EN: 0
; COMPUTE_PGM_RSRC2:TGID_Z_EN: 0
; COMPUTE_PGM_RSRC2:TIDIG_COMP_CNT: 0
	.section	.text._ZN2at6native12_GLOBAL__N_116_elemwise_kernelILi256ELi4EZNS1_43_compute_linear_combination_internal_kernelIbEEvRNS_14TensorIteratorEiiiEUliE_EEviT1_,"axG",@progbits,_ZN2at6native12_GLOBAL__N_116_elemwise_kernelILi256ELi4EZNS1_43_compute_linear_combination_internal_kernelIbEEvRNS_14TensorIteratorEiiiEUliE_EEviT1_,comdat
	.globl	_ZN2at6native12_GLOBAL__N_116_elemwise_kernelILi256ELi4EZNS1_43_compute_linear_combination_internal_kernelIbEEvRNS_14TensorIteratorEiiiEUliE_EEviT1_ ; -- Begin function _ZN2at6native12_GLOBAL__N_116_elemwise_kernelILi256ELi4EZNS1_43_compute_linear_combination_internal_kernelIbEEvRNS_14TensorIteratorEiiiEUliE_EEviT1_
	.p2align	8
	.type	_ZN2at6native12_GLOBAL__N_116_elemwise_kernelILi256ELi4EZNS1_43_compute_linear_combination_internal_kernelIbEEvRNS_14TensorIteratorEiiiEUliE_EEviT1_,@function
_ZN2at6native12_GLOBAL__N_116_elemwise_kernelILi256ELi4EZNS1_43_compute_linear_combination_internal_kernelIbEEvRNS_14TensorIteratorEiiiEUliE_EEviT1_: ; @_ZN2at6native12_GLOBAL__N_116_elemwise_kernelILi256ELi4EZNS1_43_compute_linear_combination_internal_kernelIbEEvRNS_14TensorIteratorEiiiEUliE_EEviT1_
; %bb.0:
	s_clause 0x6
	s_load_b256 s[4:11], s[0:1], 0x8
	s_load_b32 s28, s[0:1], 0x0
	s_load_b128 s[16:19], s[0:1], 0x1a8
	s_load_b128 s[24:27], s[0:1], 0xcc
	s_load_b64 s[12:13], s[0:1], 0xdc
	s_load_b64 s[2:3], s[0:1], 0x1a0
	s_load_b128 s[20:23], s[0:1], 0x190
	s_or_b32 s0, s0, 8
	v_lshl_or_b32 v6, s15, 10, v0
	s_mov_b32 s31, -1
	s_mov_b32 s30, exec_lo
	s_waitcnt lgkmcnt(0)
	s_add_i32 s11, s4, -1
	s_delay_alu instid0(SALU_CYCLE_1)
	s_cmp_gt_u32 s11, 1
	s_cselect_b32 s14, -1, 0
	s_cmp_lg_u32 s4, 0
	v_cndmask_b32_e64 v7, 0, 1, s14
	s_cselect_b32 s29, -1, 0
	s_min_u32 s19, s11, 15
	s_cmp_gt_u32 s4, 1
	s_cselect_b32 s11, -1, 0
	s_cmp_gt_i32 s16, 0
	s_cselect_b32 s4, -1, 0
	v_cmpx_gt_i32_e64 s28, v6
	s_cbranch_execnz .LBB10_4
; %bb.1:
	s_or_b32 exec_lo, exec_lo, s30
	s_delay_alu instid0(SALU_CYCLE_1)
	s_mov_b32 s30, exec_lo
	v_cmpx_gt_i32_e64 s28, v6
	s_cbranch_execnz .LBB10_18
.LBB10_2:
	s_or_b32 exec_lo, exec_lo, s30
	s_delay_alu instid0(SALU_CYCLE_1)
	s_mov_b32 s30, exec_lo
	v_cmpx_gt_i32_e64 s28, v6
	s_cbranch_execnz .LBB10_32
.LBB10_3:
	s_or_b32 exec_lo, exec_lo, s30
	s_delay_alu instid0(SALU_CYCLE_1)
	s_mov_b32 s14, exec_lo
	v_cmpx_gt_i32_e64 s28, v6
	s_cbranch_execnz .LBB10_46
	s_branch .LBB10_59
.LBB10_4:
	s_and_not1_b32 vcc_lo, exec_lo, s14
	s_cbranch_vccnz .LBB10_10
; %bb.5:
	v_dual_mov_b32 v2, 0 :: v_dual_mov_b32 v1, 0
	v_mov_b32_e32 v0, 0
	s_and_not1_b32 vcc_lo, exec_lo, s29
	s_mov_b32 s31, 0
	s_cbranch_vccnz .LBB10_11
; %bb.6:
	s_add_i32 s14, s19, 1
	v_dual_mov_b32 v0, 0 :: v_dual_mov_b32 v1, 0
	v_dual_mov_b32 v2, 0 :: v_dual_mov_b32 v3, v6
	s_and_b32 s33, s14, 30
	s_add_u32 s14, s0, 0xffffffec
	s_addc_u32 s15, s1, -1
	s_set_inst_prefetch_distance 0x1
	.p2align	6
.LBB10_7:                               ; =>This Inner Loop Header: Depth=1
	s_clause 0x2
	s_load_b128 s[36:39], s[14:15], 0x18
	s_load_b64 s[34:35], s[14:15], 0x28
	s_load_b128 s[40:43], s[14:15], 0xd8
	s_waitcnt lgkmcnt(0)
	v_mul_hi_u32 v4, s37, v3
	s_delay_alu instid0(VALU_DEP_1) | instskip(NEXT) | instid1(VALU_DEP_1)
	v_add_nc_u32_e32 v4, v3, v4
	v_lshrrev_b32_e32 v4, s38, v4
	s_delay_alu instid0(VALU_DEP_1)
	v_mul_hi_u32 v5, s34, v4
	v_mul_lo_u32 v8, v4, s36
	s_load_b64 s[36:37], s[14:15], 0xe8
	s_add_u32 s14, s14, 24
	s_addc_u32 s15, s15, 0
	s_add_i32 s33, s33, -2
	s_delay_alu instid0(SALU_CYCLE_1) | instskip(NEXT) | instid1(VALU_DEP_2)
	s_cmp_lg_u32 s33, 0
	v_add_nc_u32_e32 v5, v4, v5
	s_delay_alu instid0(VALU_DEP_2) | instskip(NEXT) | instid1(VALU_DEP_2)
	v_sub_nc_u32_e32 v8, v3, v8
	v_lshrrev_b32_e32 v3, s35, v5
	s_delay_alu instid0(VALU_DEP_2) | instskip(NEXT) | instid1(VALU_DEP_2)
	v_mul_lo_u32 v9, v8, s40
	v_mul_lo_u32 v5, v3, s39
	s_delay_alu instid0(VALU_DEP_1) | instskip(SKIP_2) | instid1(VALU_DEP_3)
	v_sub_nc_u32_e32 v4, v4, v5
	v_mul_lo_u32 v5, v8, s41
	v_mul_lo_u32 v8, v8, s42
	;; [unrolled: 1-line block ×3, first 2 shown]
	s_waitcnt lgkmcnt(0)
	v_mul_lo_u32 v11, v4, s36
	v_mul_lo_u32 v4, v4, s37
	s_delay_alu instid0(VALU_DEP_3) | instskip(NEXT) | instid1(VALU_DEP_3)
	v_add3_u32 v2, v9, v2, v10
	v_add3_u32 v1, v5, v1, v11
	s_delay_alu instid0(VALU_DEP_3)
	v_add3_u32 v0, v8, v0, v4
	s_cbranch_scc1 .LBB10_7
; %bb.8:
	s_set_inst_prefetch_distance 0x2
	s_bitcmp1_b32 s19, 0
	s_cselect_b32 s33, -1, 0
	s_delay_alu instid0(SALU_CYCLE_1)
	s_and_b32 vcc_lo, exec_lo, s33
	s_cbranch_vccnz .LBB10_11
; %bb.9:
	s_clause 0x3
	s_load_b64 s[34:35], s[14:15], 0x18
	s_load_b32 s33, s[14:15], 0x20
	s_load_b64 s[36:37], s[14:15], 0xd8
	s_load_b32 s14, s[14:15], 0xe0
	s_waitcnt lgkmcnt(0)
	v_mul_hi_u32 v4, s35, v3
	s_delay_alu instid0(VALU_DEP_1) | instskip(NEXT) | instid1(VALU_DEP_1)
	v_add_nc_u32_e32 v4, v3, v4
	v_lshrrev_b32_e32 v4, s33, v4
	s_delay_alu instid0(VALU_DEP_1) | instskip(NEXT) | instid1(VALU_DEP_1)
	v_mul_lo_u32 v4, v4, s34
	v_sub_nc_u32_e32 v10, v3, v4
	s_delay_alu instid0(VALU_DEP_1) | instskip(SKIP_2) | instid1(VALU_DEP_2)
	v_mad_u64_u32 v[3:4], null, v10, s36, v[2:3]
	v_mad_u64_u32 v[4:5], null, v10, s37, v[1:2]
	;; [unrolled: 1-line block ×3, first 2 shown]
	v_dual_mov_b32 v2, v3 :: v_dual_mov_b32 v1, v4
	s_delay_alu instid0(VALU_DEP_2)
	v_mov_b32_e32 v0, v8
	s_branch .LBB10_11
.LBB10_10:
                                        ; implicit-def: $vgpr2
                                        ; implicit-def: $vgpr1
                                        ; implicit-def: $vgpr0
.LBB10_11:
	s_and_not1_b32 vcc_lo, exec_lo, s31
	s_cbranch_vccnz .LBB10_14
; %bb.12:
	v_mul_hi_u32 v0, s6, v6
	s_and_not1_b32 vcc_lo, exec_lo, s11
	s_delay_alu instid0(VALU_DEP_1) | instskip(NEXT) | instid1(VALU_DEP_1)
	v_add_nc_u32_e32 v0, v6, v0
	v_lshrrev_b32_e32 v3, s7, v0
	s_delay_alu instid0(VALU_DEP_1) | instskip(NEXT) | instid1(VALU_DEP_1)
	v_mul_lo_u32 v0, v3, s5
	v_sub_nc_u32_e32 v0, v6, v0
	s_delay_alu instid0(VALU_DEP_1)
	v_mul_lo_u32 v2, v0, s24
	v_mul_lo_u32 v1, v0, s25
	;; [unrolled: 1-line block ×3, first 2 shown]
	s_cbranch_vccnz .LBB10_14
; %bb.13:
	v_mul_hi_u32 v4, s9, v3
	s_delay_alu instid0(VALU_DEP_1) | instskip(NEXT) | instid1(VALU_DEP_1)
	v_add_nc_u32_e32 v4, v3, v4
	v_lshrrev_b32_e32 v4, s10, v4
	s_delay_alu instid0(VALU_DEP_1) | instskip(NEXT) | instid1(VALU_DEP_1)
	v_mul_lo_u32 v4, v4, s8
	v_sub_nc_u32_e32 v10, v3, v4
	s_delay_alu instid0(VALU_DEP_1) | instskip(SKIP_2) | instid1(VALU_DEP_2)
	v_mad_u64_u32 v[3:4], null, v10, s27, v[2:3]
	v_mad_u64_u32 v[4:5], null, v10, s12, v[1:2]
	;; [unrolled: 1-line block ×3, first 2 shown]
	v_dual_mov_b32 v2, v3 :: v_dual_mov_b32 v1, v4
	s_delay_alu instid0(VALU_DEP_2)
	v_mov_b32_e32 v0, v8
.LBB10_14:
	s_and_not1_b32 vcc_lo, exec_lo, s4
	s_cbranch_vccnz .LBB10_17
; %bb.15:
	global_load_u8 v8, v2, s[20:21]
	v_add_co_u32 v2, s14, s20, v2
	s_delay_alu instid0(VALU_DEP_1) | instskip(SKIP_1) | instid1(VALU_DEP_1)
	v_add_co_ci_u32_e64 v3, null, s21, 0, s14
	v_add_co_u32 v4, s14, s22, v1
	v_add_co_ci_u32_e64 v5, null, s23, 0, s14
	v_add_co_u32 v0, s14, s2, v0
	s_delay_alu instid0(VALU_DEP_1)
	v_add_co_ci_u32_e64 v1, null, s3, 0, s14
	s_ashr_i32 s14, s18, 31
	s_ashr_i32 s15, s17, 31
	s_mov_b32 s31, s17
	s_mov_b32 s33, s16
	.p2align	6
.LBB10_16:                              ; =>This Inner Loop Header: Depth=1
	global_load_u8 v9, v[4:5], off
	global_load_u8 v10, v[0:1], off
	v_add_co_u32 v0, vcc_lo, v0, s18
	v_add_co_ci_u32_e32 v1, vcc_lo, s14, v1, vcc_lo
	v_add_co_u32 v4, vcc_lo, v4, s31
	v_add_co_ci_u32_e32 v5, vcc_lo, s15, v5, vcc_lo
	s_add_i32 s33, s33, -1
	s_delay_alu instid0(SALU_CYCLE_1) | instskip(SKIP_2) | instid1(VALU_DEP_1)
	s_cmp_lg_u32 s33, 0
	s_waitcnt vmcnt(0)
	v_mul_lo_u16 v9, v10, v9
	v_or_b32_e32 v8, v9, v8
	global_store_b8 v[2:3], v8, off
	s_cbranch_scc1 .LBB10_16
.LBB10_17:
	v_add_nc_u32_e32 v6, 0x100, v6
	s_or_b32 exec_lo, exec_lo, s30
	s_delay_alu instid0(SALU_CYCLE_1) | instskip(NEXT) | instid1(VALU_DEP_1)
	s_mov_b32 s30, exec_lo
	v_cmpx_gt_i32_e64 s28, v6
	s_cbranch_execz .LBB10_2
.LBB10_18:
	v_cmp_ne_u32_e32 vcc_lo, 1, v7
	s_cbranch_vccnz .LBB10_24
; %bb.19:
	v_dual_mov_b32 v2, 0 :: v_dual_mov_b32 v1, 0
	v_mov_b32_e32 v0, 0
	s_and_not1_b32 vcc_lo, exec_lo, s29
	s_mov_b32 s31, 0
	s_cbranch_vccnz .LBB10_25
; %bb.20:
	s_add_i32 s14, s19, 1
	v_dual_mov_b32 v0, 0 :: v_dual_mov_b32 v1, 0
	v_dual_mov_b32 v2, 0 :: v_dual_mov_b32 v3, v6
	s_and_b32 s33, s14, 30
	s_add_u32 s14, s0, 0xffffffec
	s_addc_u32 s15, s1, -1
	s_set_inst_prefetch_distance 0x1
	.p2align	6
.LBB10_21:                              ; =>This Inner Loop Header: Depth=1
	s_clause 0x2
	s_load_b128 s[36:39], s[14:15], 0x18
	s_load_b64 s[34:35], s[14:15], 0x28
	s_load_b128 s[40:43], s[14:15], 0xd8
	s_waitcnt lgkmcnt(0)
	v_mul_hi_u32 v4, s37, v3
	s_delay_alu instid0(VALU_DEP_1) | instskip(NEXT) | instid1(VALU_DEP_1)
	v_add_nc_u32_e32 v4, v3, v4
	v_lshrrev_b32_e32 v4, s38, v4
	s_delay_alu instid0(VALU_DEP_1)
	v_mul_hi_u32 v5, s34, v4
	v_mul_lo_u32 v8, v4, s36
	s_load_b64 s[36:37], s[14:15], 0xe8
	s_add_u32 s14, s14, 24
	s_addc_u32 s15, s15, 0
	s_add_i32 s33, s33, -2
	s_delay_alu instid0(SALU_CYCLE_1) | instskip(NEXT) | instid1(VALU_DEP_2)
	s_cmp_eq_u32 s33, 0
	v_add_nc_u32_e32 v5, v4, v5
	s_delay_alu instid0(VALU_DEP_2) | instskip(NEXT) | instid1(VALU_DEP_2)
	v_sub_nc_u32_e32 v8, v3, v8
	v_lshrrev_b32_e32 v3, s35, v5
	s_delay_alu instid0(VALU_DEP_2) | instskip(NEXT) | instid1(VALU_DEP_2)
	v_mul_lo_u32 v9, v8, s40
	v_mul_lo_u32 v5, v3, s39
	s_delay_alu instid0(VALU_DEP_1) | instskip(SKIP_2) | instid1(VALU_DEP_3)
	v_sub_nc_u32_e32 v4, v4, v5
	v_mul_lo_u32 v5, v8, s41
	v_mul_lo_u32 v8, v8, s42
	;; [unrolled: 1-line block ×3, first 2 shown]
	s_waitcnt lgkmcnt(0)
	v_mul_lo_u32 v11, v4, s36
	v_mul_lo_u32 v4, v4, s37
	s_delay_alu instid0(VALU_DEP_3) | instskip(NEXT) | instid1(VALU_DEP_3)
	v_add3_u32 v2, v9, v2, v10
	v_add3_u32 v1, v5, v1, v11
	s_delay_alu instid0(VALU_DEP_3)
	v_add3_u32 v0, v8, v0, v4
	s_cbranch_scc0 .LBB10_21
; %bb.22:
	s_set_inst_prefetch_distance 0x2
	s_bitcmp1_b32 s19, 0
	s_cselect_b32 s33, -1, 0
	s_delay_alu instid0(SALU_CYCLE_1)
	s_and_b32 vcc_lo, exec_lo, s33
	s_cbranch_vccnz .LBB10_25
; %bb.23:
	s_clause 0x3
	s_load_b64 s[34:35], s[14:15], 0x18
	s_load_b32 s33, s[14:15], 0x20
	s_load_b64 s[36:37], s[14:15], 0xd8
	s_load_b32 s14, s[14:15], 0xe0
	s_waitcnt lgkmcnt(0)
	v_mul_hi_u32 v4, s35, v3
	s_delay_alu instid0(VALU_DEP_1) | instskip(NEXT) | instid1(VALU_DEP_1)
	v_add_nc_u32_e32 v4, v3, v4
	v_lshrrev_b32_e32 v4, s33, v4
	s_delay_alu instid0(VALU_DEP_1) | instskip(NEXT) | instid1(VALU_DEP_1)
	v_mul_lo_u32 v4, v4, s34
	v_sub_nc_u32_e32 v10, v3, v4
	s_delay_alu instid0(VALU_DEP_1) | instskip(SKIP_2) | instid1(VALU_DEP_2)
	v_mad_u64_u32 v[3:4], null, v10, s36, v[2:3]
	v_mad_u64_u32 v[4:5], null, v10, s37, v[1:2]
	;; [unrolled: 1-line block ×3, first 2 shown]
	v_dual_mov_b32 v2, v3 :: v_dual_mov_b32 v1, v4
	s_delay_alu instid0(VALU_DEP_2)
	v_mov_b32_e32 v0, v8
	s_branch .LBB10_25
.LBB10_24:
	s_mov_b32 s31, -1
                                        ; implicit-def: $vgpr2
                                        ; implicit-def: $vgpr1
                                        ; implicit-def: $vgpr0
.LBB10_25:
	s_delay_alu instid0(SALU_CYCLE_1)
	s_and_not1_b32 vcc_lo, exec_lo, s31
	s_cbranch_vccnz .LBB10_28
; %bb.26:
	v_mul_hi_u32 v0, s6, v6
	s_and_not1_b32 vcc_lo, exec_lo, s11
	s_delay_alu instid0(VALU_DEP_1) | instskip(NEXT) | instid1(VALU_DEP_1)
	v_add_nc_u32_e32 v0, v6, v0
	v_lshrrev_b32_e32 v3, s7, v0
	s_delay_alu instid0(VALU_DEP_1) | instskip(NEXT) | instid1(VALU_DEP_1)
	v_mul_lo_u32 v0, v3, s5
	v_sub_nc_u32_e32 v0, v6, v0
	s_delay_alu instid0(VALU_DEP_1)
	v_mul_lo_u32 v2, v0, s24
	v_mul_lo_u32 v1, v0, s25
	;; [unrolled: 1-line block ×3, first 2 shown]
	s_cbranch_vccnz .LBB10_28
; %bb.27:
	v_mul_hi_u32 v4, s9, v3
	s_delay_alu instid0(VALU_DEP_1) | instskip(NEXT) | instid1(VALU_DEP_1)
	v_add_nc_u32_e32 v4, v3, v4
	v_lshrrev_b32_e32 v4, s10, v4
	s_delay_alu instid0(VALU_DEP_1) | instskip(NEXT) | instid1(VALU_DEP_1)
	v_mul_lo_u32 v4, v4, s8
	v_sub_nc_u32_e32 v10, v3, v4
	s_delay_alu instid0(VALU_DEP_1) | instskip(SKIP_2) | instid1(VALU_DEP_2)
	v_mad_u64_u32 v[3:4], null, v10, s27, v[2:3]
	v_mad_u64_u32 v[4:5], null, v10, s12, v[1:2]
	;; [unrolled: 1-line block ×3, first 2 shown]
	v_dual_mov_b32 v2, v3 :: v_dual_mov_b32 v1, v4
	s_delay_alu instid0(VALU_DEP_2)
	v_mov_b32_e32 v0, v8
.LBB10_28:
	s_and_not1_b32 vcc_lo, exec_lo, s4
	s_cbranch_vccnz .LBB10_31
; %bb.29:
	global_load_u8 v8, v2, s[20:21]
	v_add_co_u32 v2, s14, s20, v2
	s_delay_alu instid0(VALU_DEP_1) | instskip(SKIP_1) | instid1(VALU_DEP_1)
	v_add_co_ci_u32_e64 v3, null, s21, 0, s14
	v_add_co_u32 v4, s14, s22, v1
	v_add_co_ci_u32_e64 v5, null, s23, 0, s14
	v_add_co_u32 v0, s14, s2, v0
	s_delay_alu instid0(VALU_DEP_1)
	v_add_co_ci_u32_e64 v1, null, s3, 0, s14
	s_ashr_i32 s14, s18, 31
	s_ashr_i32 s15, s17, 31
	s_mov_b32 s31, s17
	s_mov_b32 s33, s16
	.p2align	6
.LBB10_30:                              ; =>This Inner Loop Header: Depth=1
	global_load_u8 v9, v[4:5], off
	global_load_u8 v10, v[0:1], off
	v_add_co_u32 v0, vcc_lo, v0, s18
	v_add_co_ci_u32_e32 v1, vcc_lo, s14, v1, vcc_lo
	v_add_co_u32 v4, vcc_lo, v4, s31
	v_add_co_ci_u32_e32 v5, vcc_lo, s15, v5, vcc_lo
	s_add_i32 s33, s33, -1
	s_delay_alu instid0(SALU_CYCLE_1) | instskip(SKIP_2) | instid1(VALU_DEP_1)
	s_cmp_lg_u32 s33, 0
	s_waitcnt vmcnt(0)
	v_mul_lo_u16 v9, v10, v9
	v_or_b32_e32 v8, v9, v8
	global_store_b8 v[2:3], v8, off
	s_cbranch_scc1 .LBB10_30
.LBB10_31:
	v_add_nc_u32_e32 v6, 0x100, v6
	s_or_b32 exec_lo, exec_lo, s30
	s_delay_alu instid0(SALU_CYCLE_1) | instskip(NEXT) | instid1(VALU_DEP_1)
	s_mov_b32 s30, exec_lo
	v_cmpx_gt_i32_e64 s28, v6
	s_cbranch_execz .LBB10_3
.LBB10_32:
	v_cmp_ne_u32_e32 vcc_lo, 1, v7
	s_cbranch_vccnz .LBB10_38
; %bb.33:
	v_dual_mov_b32 v2, 0 :: v_dual_mov_b32 v1, 0
	v_mov_b32_e32 v0, 0
	s_and_not1_b32 vcc_lo, exec_lo, s29
	s_mov_b32 s31, 0
	s_cbranch_vccnz .LBB10_39
; %bb.34:
	s_add_i32 s14, s19, 1
	v_dual_mov_b32 v0, 0 :: v_dual_mov_b32 v1, 0
	v_dual_mov_b32 v2, 0 :: v_dual_mov_b32 v3, v6
	s_and_b32 s33, s14, 30
	s_add_u32 s14, s0, 0xffffffec
	s_addc_u32 s15, s1, -1
	s_set_inst_prefetch_distance 0x1
	.p2align	6
.LBB10_35:                              ; =>This Inner Loop Header: Depth=1
	s_clause 0x2
	s_load_b128 s[36:39], s[14:15], 0x18
	s_load_b64 s[34:35], s[14:15], 0x28
	s_load_b128 s[40:43], s[14:15], 0xd8
	s_waitcnt lgkmcnt(0)
	v_mul_hi_u32 v4, s37, v3
	s_delay_alu instid0(VALU_DEP_1) | instskip(NEXT) | instid1(VALU_DEP_1)
	v_add_nc_u32_e32 v4, v3, v4
	v_lshrrev_b32_e32 v4, s38, v4
	s_delay_alu instid0(VALU_DEP_1)
	v_mul_hi_u32 v5, s34, v4
	v_mul_lo_u32 v8, v4, s36
	s_load_b64 s[36:37], s[14:15], 0xe8
	s_add_u32 s14, s14, 24
	s_addc_u32 s15, s15, 0
	s_add_i32 s33, s33, -2
	s_delay_alu instid0(SALU_CYCLE_1) | instskip(NEXT) | instid1(VALU_DEP_2)
	s_cmp_eq_u32 s33, 0
	v_add_nc_u32_e32 v5, v4, v5
	s_delay_alu instid0(VALU_DEP_2) | instskip(NEXT) | instid1(VALU_DEP_2)
	v_sub_nc_u32_e32 v8, v3, v8
	v_lshrrev_b32_e32 v3, s35, v5
	s_delay_alu instid0(VALU_DEP_2) | instskip(NEXT) | instid1(VALU_DEP_2)
	v_mul_lo_u32 v9, v8, s40
	v_mul_lo_u32 v5, v3, s39
	s_delay_alu instid0(VALU_DEP_1) | instskip(SKIP_2) | instid1(VALU_DEP_3)
	v_sub_nc_u32_e32 v4, v4, v5
	v_mul_lo_u32 v5, v8, s41
	v_mul_lo_u32 v8, v8, s42
	;; [unrolled: 1-line block ×3, first 2 shown]
	s_waitcnt lgkmcnt(0)
	v_mul_lo_u32 v11, v4, s36
	v_mul_lo_u32 v4, v4, s37
	s_delay_alu instid0(VALU_DEP_3) | instskip(NEXT) | instid1(VALU_DEP_3)
	v_add3_u32 v2, v9, v2, v10
	v_add3_u32 v1, v5, v1, v11
	s_delay_alu instid0(VALU_DEP_3)
	v_add3_u32 v0, v8, v0, v4
	s_cbranch_scc0 .LBB10_35
; %bb.36:
	s_set_inst_prefetch_distance 0x2
	s_bitcmp1_b32 s19, 0
	s_cselect_b32 s33, -1, 0
	s_delay_alu instid0(SALU_CYCLE_1)
	s_and_b32 vcc_lo, exec_lo, s33
	s_cbranch_vccnz .LBB10_39
; %bb.37:
	s_clause 0x3
	s_load_b64 s[34:35], s[14:15], 0x18
	s_load_b32 s33, s[14:15], 0x20
	s_load_b64 s[36:37], s[14:15], 0xd8
	s_load_b32 s14, s[14:15], 0xe0
	s_waitcnt lgkmcnt(0)
	v_mul_hi_u32 v4, s35, v3
	s_delay_alu instid0(VALU_DEP_1) | instskip(NEXT) | instid1(VALU_DEP_1)
	v_add_nc_u32_e32 v4, v3, v4
	v_lshrrev_b32_e32 v4, s33, v4
	s_delay_alu instid0(VALU_DEP_1) | instskip(NEXT) | instid1(VALU_DEP_1)
	v_mul_lo_u32 v4, v4, s34
	v_sub_nc_u32_e32 v10, v3, v4
	s_delay_alu instid0(VALU_DEP_1) | instskip(SKIP_2) | instid1(VALU_DEP_2)
	v_mad_u64_u32 v[3:4], null, v10, s36, v[2:3]
	v_mad_u64_u32 v[4:5], null, v10, s37, v[1:2]
	;; [unrolled: 1-line block ×3, first 2 shown]
	v_dual_mov_b32 v2, v3 :: v_dual_mov_b32 v1, v4
	s_delay_alu instid0(VALU_DEP_2)
	v_mov_b32_e32 v0, v8
	s_branch .LBB10_39
.LBB10_38:
	s_mov_b32 s31, -1
                                        ; implicit-def: $vgpr2
                                        ; implicit-def: $vgpr1
                                        ; implicit-def: $vgpr0
.LBB10_39:
	s_delay_alu instid0(SALU_CYCLE_1)
	s_and_not1_b32 vcc_lo, exec_lo, s31
	s_cbranch_vccnz .LBB10_42
; %bb.40:
	v_mul_hi_u32 v0, s6, v6
	s_and_not1_b32 vcc_lo, exec_lo, s11
	s_delay_alu instid0(VALU_DEP_1) | instskip(NEXT) | instid1(VALU_DEP_1)
	v_add_nc_u32_e32 v0, v6, v0
	v_lshrrev_b32_e32 v3, s7, v0
	s_delay_alu instid0(VALU_DEP_1) | instskip(NEXT) | instid1(VALU_DEP_1)
	v_mul_lo_u32 v0, v3, s5
	v_sub_nc_u32_e32 v0, v6, v0
	s_delay_alu instid0(VALU_DEP_1)
	v_mul_lo_u32 v2, v0, s24
	v_mul_lo_u32 v1, v0, s25
	;; [unrolled: 1-line block ×3, first 2 shown]
	s_cbranch_vccnz .LBB10_42
; %bb.41:
	v_mul_hi_u32 v4, s9, v3
	s_delay_alu instid0(VALU_DEP_1) | instskip(NEXT) | instid1(VALU_DEP_1)
	v_add_nc_u32_e32 v4, v3, v4
	v_lshrrev_b32_e32 v4, s10, v4
	s_delay_alu instid0(VALU_DEP_1) | instskip(NEXT) | instid1(VALU_DEP_1)
	v_mul_lo_u32 v4, v4, s8
	v_sub_nc_u32_e32 v10, v3, v4
	s_delay_alu instid0(VALU_DEP_1) | instskip(SKIP_2) | instid1(VALU_DEP_2)
	v_mad_u64_u32 v[3:4], null, v10, s27, v[2:3]
	v_mad_u64_u32 v[4:5], null, v10, s12, v[1:2]
	;; [unrolled: 1-line block ×3, first 2 shown]
	v_dual_mov_b32 v2, v3 :: v_dual_mov_b32 v1, v4
	s_delay_alu instid0(VALU_DEP_2)
	v_mov_b32_e32 v0, v8
.LBB10_42:
	s_and_not1_b32 vcc_lo, exec_lo, s4
	s_cbranch_vccnz .LBB10_45
; %bb.43:
	global_load_u8 v8, v2, s[20:21]
	v_add_co_u32 v2, s14, s20, v2
	s_delay_alu instid0(VALU_DEP_1) | instskip(SKIP_1) | instid1(VALU_DEP_1)
	v_add_co_ci_u32_e64 v3, null, s21, 0, s14
	v_add_co_u32 v4, s14, s22, v1
	v_add_co_ci_u32_e64 v5, null, s23, 0, s14
	v_add_co_u32 v0, s14, s2, v0
	s_delay_alu instid0(VALU_DEP_1)
	v_add_co_ci_u32_e64 v1, null, s3, 0, s14
	s_ashr_i32 s14, s18, 31
	s_ashr_i32 s15, s17, 31
	s_mov_b32 s31, s17
	s_mov_b32 s33, s16
	.p2align	6
.LBB10_44:                              ; =>This Inner Loop Header: Depth=1
	global_load_u8 v9, v[4:5], off
	global_load_u8 v10, v[0:1], off
	v_add_co_u32 v0, vcc_lo, v0, s18
	v_add_co_ci_u32_e32 v1, vcc_lo, s14, v1, vcc_lo
	v_add_co_u32 v4, vcc_lo, v4, s31
	v_add_co_ci_u32_e32 v5, vcc_lo, s15, v5, vcc_lo
	s_add_i32 s33, s33, -1
	s_delay_alu instid0(SALU_CYCLE_1) | instskip(SKIP_2) | instid1(VALU_DEP_1)
	s_cmp_lg_u32 s33, 0
	s_waitcnt vmcnt(0)
	v_mul_lo_u16 v9, v10, v9
	v_or_b32_e32 v8, v9, v8
	global_store_b8 v[2:3], v8, off
	s_cbranch_scc1 .LBB10_44
.LBB10_45:
	v_add_nc_u32_e32 v6, 0x100, v6
	s_or_b32 exec_lo, exec_lo, s30
	s_delay_alu instid0(SALU_CYCLE_1) | instskip(NEXT) | instid1(VALU_DEP_1)
	s_mov_b32 s14, exec_lo
	v_cmpx_gt_i32_e64 s28, v6
	s_cbranch_execz .LBB10_59
.LBB10_46:
	v_cmp_ne_u32_e32 vcc_lo, 1, v7
	s_cbranch_vccnz .LBB10_52
; %bb.47:
	v_dual_mov_b32 v2, 0 :: v_dual_mov_b32 v1, 0
	v_mov_b32_e32 v0, 0
	s_and_not1_b32 vcc_lo, exec_lo, s29
	s_mov_b32 s14, 0
	s_cbranch_vccnz .LBB10_53
; %bb.48:
	s_add_i32 s15, s19, 1
	v_dual_mov_b32 v0, 0 :: v_dual_mov_b32 v1, 0
	v_dual_mov_b32 v2, 0 :: v_dual_mov_b32 v3, v6
	s_and_b32 s15, s15, 30
	s_add_u32 s0, s0, 0xffffffec
	s_addc_u32 s1, s1, -1
	s_set_inst_prefetch_distance 0x1
	.p2align	6
.LBB10_49:                              ; =>This Inner Loop Header: Depth=1
	s_clause 0x2
	s_load_b128 s[28:31], s[0:1], 0x18
	s_load_b64 s[34:35], s[0:1], 0x28
	s_load_b128 s[36:39], s[0:1], 0xd8
	s_waitcnt lgkmcnt(0)
	v_mul_hi_u32 v4, s29, v3
	s_delay_alu instid0(VALU_DEP_1) | instskip(NEXT) | instid1(VALU_DEP_1)
	v_add_nc_u32_e32 v4, v3, v4
	v_lshrrev_b32_e32 v4, s30, v4
	s_delay_alu instid0(VALU_DEP_1)
	v_mul_hi_u32 v5, s34, v4
	v_mul_lo_u32 v7, v4, s28
	s_load_b64 s[28:29], s[0:1], 0xe8
	s_add_u32 s0, s0, 24
	s_addc_u32 s1, s1, 0
	s_add_i32 s15, s15, -2
	s_delay_alu instid0(SALU_CYCLE_1) | instskip(NEXT) | instid1(VALU_DEP_2)
	s_cmp_eq_u32 s15, 0
	v_add_nc_u32_e32 v5, v4, v5
	s_delay_alu instid0(VALU_DEP_2) | instskip(NEXT) | instid1(VALU_DEP_2)
	v_sub_nc_u32_e32 v7, v3, v7
	v_lshrrev_b32_e32 v3, s35, v5
	s_delay_alu instid0(VALU_DEP_2) | instskip(NEXT) | instid1(VALU_DEP_2)
	v_mul_lo_u32 v8, v7, s36
	v_mul_lo_u32 v5, v3, s31
	s_delay_alu instid0(VALU_DEP_1) | instskip(SKIP_2) | instid1(VALU_DEP_3)
	v_sub_nc_u32_e32 v4, v4, v5
	v_mul_lo_u32 v5, v7, s37
	v_mul_lo_u32 v7, v7, s38
	v_mul_lo_u32 v9, v4, s39
	s_waitcnt lgkmcnt(0)
	v_mul_lo_u32 v10, v4, s28
	v_mul_lo_u32 v4, v4, s29
	s_delay_alu instid0(VALU_DEP_3) | instskip(NEXT) | instid1(VALU_DEP_3)
	v_add3_u32 v2, v8, v2, v9
	v_add3_u32 v1, v5, v1, v10
	s_delay_alu instid0(VALU_DEP_3)
	v_add3_u32 v0, v7, v0, v4
	s_cbranch_scc0 .LBB10_49
; %bb.50:
	s_set_inst_prefetch_distance 0x2
	s_bitcmp1_b32 s19, 0
	s_cselect_b32 s15, -1, 0
	s_delay_alu instid0(SALU_CYCLE_1)
	s_and_b32 vcc_lo, exec_lo, s15
	s_cbranch_vccnz .LBB10_53
; %bb.51:
	s_clause 0x3
	s_load_b64 s[28:29], s[0:1], 0x18
	s_load_b32 s15, s[0:1], 0x20
	s_load_b64 s[30:31], s[0:1], 0xd8
	s_load_b32 s0, s[0:1], 0xe0
	s_waitcnt lgkmcnt(0)
	v_mul_hi_u32 v4, s29, v3
	s_delay_alu instid0(VALU_DEP_1) | instskip(NEXT) | instid1(VALU_DEP_1)
	v_add_nc_u32_e32 v4, v3, v4
	v_lshrrev_b32_e32 v4, s15, v4
	s_delay_alu instid0(VALU_DEP_1) | instskip(NEXT) | instid1(VALU_DEP_1)
	v_mul_lo_u32 v4, v4, s28
	v_sub_nc_u32_e32 v9, v3, v4
	s_delay_alu instid0(VALU_DEP_1) | instskip(SKIP_2) | instid1(VALU_DEP_2)
	v_mad_u64_u32 v[3:4], null, v9, s30, v[2:3]
	v_mad_u64_u32 v[4:5], null, v9, s31, v[1:2]
	;; [unrolled: 1-line block ×3, first 2 shown]
	v_dual_mov_b32 v2, v3 :: v_dual_mov_b32 v1, v4
	s_delay_alu instid0(VALU_DEP_2)
	v_mov_b32_e32 v0, v7
	s_branch .LBB10_53
.LBB10_52:
	s_mov_b32 s14, -1
                                        ; implicit-def: $vgpr2
                                        ; implicit-def: $vgpr1
                                        ; implicit-def: $vgpr0
.LBB10_53:
	s_delay_alu instid0(SALU_CYCLE_1)
	s_and_not1_b32 vcc_lo, exec_lo, s14
	s_cbranch_vccnz .LBB10_56
; %bb.54:
	v_mul_hi_u32 v0, s6, v6
	s_and_not1_b32 vcc_lo, exec_lo, s11
	s_delay_alu instid0(VALU_DEP_1) | instskip(NEXT) | instid1(VALU_DEP_1)
	v_add_nc_u32_e32 v0, v6, v0
	v_lshrrev_b32_e32 v3, s7, v0
	s_delay_alu instid0(VALU_DEP_1) | instskip(NEXT) | instid1(VALU_DEP_1)
	v_mul_lo_u32 v0, v3, s5
	v_sub_nc_u32_e32 v0, v6, v0
	s_delay_alu instid0(VALU_DEP_1)
	v_mul_lo_u32 v2, v0, s24
	v_mul_lo_u32 v1, v0, s25
	;; [unrolled: 1-line block ×3, first 2 shown]
	s_cbranch_vccnz .LBB10_56
; %bb.55:
	v_mul_hi_u32 v4, s9, v3
	s_delay_alu instid0(VALU_DEP_1) | instskip(NEXT) | instid1(VALU_DEP_1)
	v_add_nc_u32_e32 v4, v3, v4
	v_lshrrev_b32_e32 v4, s10, v4
	s_delay_alu instid0(VALU_DEP_1) | instskip(NEXT) | instid1(VALU_DEP_1)
	v_mul_lo_u32 v4, v4, s8
	v_sub_nc_u32_e32 v7, v3, v4
	s_delay_alu instid0(VALU_DEP_1) | instskip(SKIP_2) | instid1(VALU_DEP_2)
	v_mad_u64_u32 v[3:4], null, v7, s27, v[2:3]
	v_mad_u64_u32 v[4:5], null, v7, s12, v[1:2]
	;; [unrolled: 1-line block ×3, first 2 shown]
	v_dual_mov_b32 v2, v3 :: v_dual_mov_b32 v1, v4
	s_delay_alu instid0(VALU_DEP_2)
	v_mov_b32_e32 v0, v5
.LBB10_56:
	s_and_not1_b32 vcc_lo, exec_lo, s4
	s_cbranch_vccnz .LBB10_59
; %bb.57:
	global_load_u8 v6, v2, s[20:21]
	v_add_co_u32 v2, s0, s20, v2
	s_delay_alu instid0(VALU_DEP_1) | instskip(SKIP_1) | instid1(VALU_DEP_1)
	v_add_co_ci_u32_e64 v3, null, s21, 0, s0
	v_add_co_u32 v4, s0, s22, v1
	v_add_co_ci_u32_e64 v5, null, s23, 0, s0
	v_add_co_u32 v0, s0, s2, v0
	s_delay_alu instid0(VALU_DEP_1)
	v_add_co_ci_u32_e64 v1, null, s3, 0, s0
	s_ashr_i32 s0, s18, 31
	s_ashr_i32 s1, s17, 31
	s_mov_b32 s2, s17
	.p2align	6
.LBB10_58:                              ; =>This Inner Loop Header: Depth=1
	global_load_u8 v7, v[4:5], off
	global_load_u8 v8, v[0:1], off
	v_add_co_u32 v0, vcc_lo, v0, s18
	v_add_co_ci_u32_e32 v1, vcc_lo, s0, v1, vcc_lo
	v_add_co_u32 v4, vcc_lo, v4, s2
	v_add_co_ci_u32_e32 v5, vcc_lo, s1, v5, vcc_lo
	s_add_i32 s16, s16, -1
	s_delay_alu instid0(SALU_CYCLE_1) | instskip(SKIP_2) | instid1(VALU_DEP_1)
	s_cmp_lg_u32 s16, 0
	s_waitcnt vmcnt(0)
	v_mul_lo_u16 v7, v8, v7
	v_or_b32_e32 v6, v7, v6
	global_store_b8 v[2:3], v6, off
	s_cbranch_scc1 .LBB10_58
.LBB10_59:
	s_nop 0
	s_sendmsg sendmsg(MSG_DEALLOC_VGPRS)
	s_endpgm
	.section	.rodata,"a",@progbits
	.p2align	6, 0x0
	.amdhsa_kernel _ZN2at6native12_GLOBAL__N_116_elemwise_kernelILi256ELi4EZNS1_43_compute_linear_combination_internal_kernelIbEEvRNS_14TensorIteratorEiiiEUliE_EEviT1_
		.amdhsa_group_segment_fixed_size 0
		.amdhsa_private_segment_fixed_size 0
		.amdhsa_kernarg_size 440
		.amdhsa_user_sgpr_count 15
		.amdhsa_user_sgpr_dispatch_ptr 0
		.amdhsa_user_sgpr_queue_ptr 0
		.amdhsa_user_sgpr_kernarg_segment_ptr 1
		.amdhsa_user_sgpr_dispatch_id 0
		.amdhsa_user_sgpr_private_segment_size 0
		.amdhsa_wavefront_size32 1
		.amdhsa_uses_dynamic_stack 0
		.amdhsa_enable_private_segment 0
		.amdhsa_system_sgpr_workgroup_id_x 1
		.amdhsa_system_sgpr_workgroup_id_y 0
		.amdhsa_system_sgpr_workgroup_id_z 0
		.amdhsa_system_sgpr_workgroup_info 0
		.amdhsa_system_vgpr_workitem_id 0
		.amdhsa_next_free_vgpr 12
		.amdhsa_next_free_sgpr 44
		.amdhsa_reserve_vcc 1
		.amdhsa_float_round_mode_32 0
		.amdhsa_float_round_mode_16_64 0
		.amdhsa_float_denorm_mode_32 3
		.amdhsa_float_denorm_mode_16_64 3
		.amdhsa_dx10_clamp 1
		.amdhsa_ieee_mode 1
		.amdhsa_fp16_overflow 0
		.amdhsa_workgroup_processor_mode 1
		.amdhsa_memory_ordered 1
		.amdhsa_forward_progress 0
		.amdhsa_shared_vgpr_count 0
		.amdhsa_exception_fp_ieee_invalid_op 0
		.amdhsa_exception_fp_denorm_src 0
		.amdhsa_exception_fp_ieee_div_zero 0
		.amdhsa_exception_fp_ieee_overflow 0
		.amdhsa_exception_fp_ieee_underflow 0
		.amdhsa_exception_fp_ieee_inexact 0
		.amdhsa_exception_int_div_zero 0
	.end_amdhsa_kernel
	.section	.text._ZN2at6native12_GLOBAL__N_116_elemwise_kernelILi256ELi4EZNS1_43_compute_linear_combination_internal_kernelIbEEvRNS_14TensorIteratorEiiiEUliE_EEviT1_,"axG",@progbits,_ZN2at6native12_GLOBAL__N_116_elemwise_kernelILi256ELi4EZNS1_43_compute_linear_combination_internal_kernelIbEEvRNS_14TensorIteratorEiiiEUliE_EEviT1_,comdat
.Lfunc_end10:
	.size	_ZN2at6native12_GLOBAL__N_116_elemwise_kernelILi256ELi4EZNS1_43_compute_linear_combination_internal_kernelIbEEvRNS_14TensorIteratorEiiiEUliE_EEviT1_, .Lfunc_end10-_ZN2at6native12_GLOBAL__N_116_elemwise_kernelILi256ELi4EZNS1_43_compute_linear_combination_internal_kernelIbEEvRNS_14TensorIteratorEiiiEUliE_EEviT1_
                                        ; -- End function
	.section	.AMDGPU.csdata,"",@progbits
; Kernel info:
; codeLenInByte = 3440
; NumSgprs: 46
; NumVgprs: 12
; ScratchSize: 0
; MemoryBound: 0
; FloatMode: 240
; IeeeMode: 1
; LDSByteSize: 0 bytes/workgroup (compile time only)
; SGPRBlocks: 5
; VGPRBlocks: 1
; NumSGPRsForWavesPerEU: 46
; NumVGPRsForWavesPerEU: 12
; Occupancy: 16
; WaveLimiterHint : 1
; COMPUTE_PGM_RSRC2:SCRATCH_EN: 0
; COMPUTE_PGM_RSRC2:USER_SGPR: 15
; COMPUTE_PGM_RSRC2:TRAP_HANDLER: 0
; COMPUTE_PGM_RSRC2:TGID_X_EN: 1
; COMPUTE_PGM_RSRC2:TGID_Y_EN: 0
; COMPUTE_PGM_RSRC2:TGID_Z_EN: 0
; COMPUTE_PGM_RSRC2:TIDIG_COMP_CNT: 0
	.section	.text._ZN2at6native12_GLOBAL__N_116_elemwise_kernelILi256ELi4EZNS1_43_compute_linear_combination_internal_kernelIN3c108BFloat16EEEvRNS_14TensorIteratorEiiiEUliE_EEviT1_,"axG",@progbits,_ZN2at6native12_GLOBAL__N_116_elemwise_kernelILi256ELi4EZNS1_43_compute_linear_combination_internal_kernelIN3c108BFloat16EEEvRNS_14TensorIteratorEiiiEUliE_EEviT1_,comdat
	.globl	_ZN2at6native12_GLOBAL__N_116_elemwise_kernelILi256ELi4EZNS1_43_compute_linear_combination_internal_kernelIN3c108BFloat16EEEvRNS_14TensorIteratorEiiiEUliE_EEviT1_ ; -- Begin function _ZN2at6native12_GLOBAL__N_116_elemwise_kernelILi256ELi4EZNS1_43_compute_linear_combination_internal_kernelIN3c108BFloat16EEEvRNS_14TensorIteratorEiiiEUliE_EEviT1_
	.p2align	8
	.type	_ZN2at6native12_GLOBAL__N_116_elemwise_kernelILi256ELi4EZNS1_43_compute_linear_combination_internal_kernelIN3c108BFloat16EEEvRNS_14TensorIteratorEiiiEUliE_EEviT1_,@function
_ZN2at6native12_GLOBAL__N_116_elemwise_kernelILi256ELi4EZNS1_43_compute_linear_combination_internal_kernelIN3c108BFloat16EEEvRNS_14TensorIteratorEiiiEUliE_EEviT1_: ; @_ZN2at6native12_GLOBAL__N_116_elemwise_kernelILi256ELi4EZNS1_43_compute_linear_combination_internal_kernelIN3c108BFloat16EEEvRNS_14TensorIteratorEiiiEUliE_EEviT1_
; %bb.0:
	s_clause 0x6
	s_load_b256 s[4:11], s[0:1], 0x8
	s_load_b32 s33, s[0:1], 0x0
	s_load_b128 s[16:19], s[0:1], 0x1a8
	s_load_b128 s[24:27], s[0:1], 0xcc
	s_load_b64 s[12:13], s[0:1], 0xdc
	s_load_b64 s[2:3], s[0:1], 0x1a0
	s_load_b128 s[20:23], s[0:1], 0x190
	s_or_b32 s31, s0, 8
	v_lshl_or_b32 v6, s15, 10, v0
	s_mov_b32 s35, exec_lo
	s_waitcnt lgkmcnt(0)
	s_add_i32 s0, s4, -1
	s_delay_alu instid0(SALU_CYCLE_1)
	s_cmp_gt_u32 s0, 1
	s_cselect_b32 s14, -1, 0
	s_cmp_lg_u32 s4, 0
	v_cndmask_b32_e64 v7, 0, 1, s14
	s_cselect_b32 s34, -1, 0
	s_min_u32 s30, s0, 15
	s_cmp_gt_u32 s4, 1
	s_mov_b32 s0, -1
	s_cselect_b32 s11, -1, 0
	s_cmp_gt_i32 s16, 0
	s_cselect_b32 s4, -1, 0
	v_cmpx_gt_i32_e64 s33, v6
	s_cbranch_execnz .LBB11_4
; %bb.1:
	s_or_b32 exec_lo, exec_lo, s35
	s_delay_alu instid0(SALU_CYCLE_1)
	s_mov_b32 s35, exec_lo
	v_cmpx_gt_i32_e64 s33, v6
	s_cbranch_execnz .LBB11_18
.LBB11_2:
	s_or_b32 exec_lo, exec_lo, s35
	s_delay_alu instid0(SALU_CYCLE_1)
	s_mov_b32 s35, exec_lo
	v_cmpx_gt_i32_e64 s33, v6
	s_cbranch_execnz .LBB11_32
.LBB11_3:
	s_or_b32 exec_lo, exec_lo, s35
	s_delay_alu instid0(SALU_CYCLE_1)
	s_mov_b32 s0, exec_lo
	v_cmpx_gt_i32_e64 s33, v6
	s_cbranch_execnz .LBB11_46
	s_branch .LBB11_59
.LBB11_4:
	s_and_not1_b32 vcc_lo, exec_lo, s14
	s_cbranch_vccnz .LBB11_10
; %bb.5:
	v_dual_mov_b32 v2, 0 :: v_dual_mov_b32 v1, 0
	v_mov_b32_e32 v0, 0
	s_and_not1_b32 vcc_lo, exec_lo, s34
	s_mov_b32 s0, 0
	s_cbranch_vccnz .LBB11_11
; %bb.6:
	s_add_i32 s14, s30, 1
	v_dual_mov_b32 v0, 0 :: v_dual_mov_b32 v1, 0
	v_dual_mov_b32 v2, 0 :: v_dual_mov_b32 v3, v6
	s_and_b32 s19, s14, 30
	s_add_u32 s14, s31, 0xffffffec
	s_addc_u32 s15, s1, -1
	s_set_inst_prefetch_distance 0x1
	.p2align	6
.LBB11_7:                               ; =>This Inner Loop Header: Depth=1
	s_clause 0x2
	s_load_b128 s[36:39], s[14:15], 0x18
	s_load_b64 s[28:29], s[14:15], 0x28
	s_load_b128 s[40:43], s[14:15], 0xd8
	s_waitcnt lgkmcnt(0)
	v_mul_hi_u32 v4, s37, v3
	s_delay_alu instid0(VALU_DEP_1) | instskip(NEXT) | instid1(VALU_DEP_1)
	v_add_nc_u32_e32 v4, v3, v4
	v_lshrrev_b32_e32 v4, s38, v4
	s_delay_alu instid0(VALU_DEP_1)
	v_mul_hi_u32 v5, s28, v4
	v_mul_lo_u32 v8, v4, s36
	s_load_b64 s[36:37], s[14:15], 0xe8
	s_add_u32 s14, s14, 24
	s_addc_u32 s15, s15, 0
	s_add_i32 s19, s19, -2
	s_delay_alu instid0(SALU_CYCLE_1) | instskip(NEXT) | instid1(VALU_DEP_2)
	s_cmp_lg_u32 s19, 0
	v_add_nc_u32_e32 v5, v4, v5
	s_delay_alu instid0(VALU_DEP_2) | instskip(NEXT) | instid1(VALU_DEP_2)
	v_sub_nc_u32_e32 v8, v3, v8
	v_lshrrev_b32_e32 v3, s29, v5
	s_delay_alu instid0(VALU_DEP_2) | instskip(NEXT) | instid1(VALU_DEP_2)
	v_mul_lo_u32 v9, v8, s40
	v_mul_lo_u32 v5, v3, s39
	s_delay_alu instid0(VALU_DEP_1) | instskip(SKIP_2) | instid1(VALU_DEP_3)
	v_sub_nc_u32_e32 v4, v4, v5
	v_mul_lo_u32 v5, v8, s41
	v_mul_lo_u32 v8, v8, s42
	;; [unrolled: 1-line block ×3, first 2 shown]
	s_waitcnt lgkmcnt(0)
	v_mul_lo_u32 v11, v4, s36
	v_mul_lo_u32 v4, v4, s37
	s_delay_alu instid0(VALU_DEP_3) | instskip(NEXT) | instid1(VALU_DEP_3)
	v_add3_u32 v2, v9, v2, v10
	v_add3_u32 v1, v5, v1, v11
	s_delay_alu instid0(VALU_DEP_3)
	v_add3_u32 v0, v8, v0, v4
	s_cbranch_scc1 .LBB11_7
; %bb.8:
	s_set_inst_prefetch_distance 0x2
	s_bitcmp1_b32 s30, 0
	s_cselect_b32 s19, -1, 0
	s_delay_alu instid0(SALU_CYCLE_1)
	s_and_b32 vcc_lo, exec_lo, s19
	s_cbranch_vccnz .LBB11_11
; %bb.9:
	s_clause 0x3
	s_load_b64 s[28:29], s[14:15], 0x18
	s_load_b32 s19, s[14:15], 0x20
	s_load_b64 s[36:37], s[14:15], 0xd8
	s_load_b32 s14, s[14:15], 0xe0
	s_waitcnt lgkmcnt(0)
	v_mul_hi_u32 v4, s29, v3
	s_delay_alu instid0(VALU_DEP_1) | instskip(NEXT) | instid1(VALU_DEP_1)
	v_add_nc_u32_e32 v4, v3, v4
	v_lshrrev_b32_e32 v4, s19, v4
	s_delay_alu instid0(VALU_DEP_1) | instskip(NEXT) | instid1(VALU_DEP_1)
	v_mul_lo_u32 v4, v4, s28
	v_sub_nc_u32_e32 v10, v3, v4
	s_delay_alu instid0(VALU_DEP_1) | instskip(SKIP_2) | instid1(VALU_DEP_2)
	v_mad_u64_u32 v[3:4], null, v10, s36, v[2:3]
	v_mad_u64_u32 v[4:5], null, v10, s37, v[1:2]
	;; [unrolled: 1-line block ×3, first 2 shown]
	v_dual_mov_b32 v2, v3 :: v_dual_mov_b32 v1, v4
	s_delay_alu instid0(VALU_DEP_2)
	v_mov_b32_e32 v0, v8
	s_branch .LBB11_11
.LBB11_10:
                                        ; implicit-def: $vgpr2
                                        ; implicit-def: $vgpr1
                                        ; implicit-def: $vgpr0
.LBB11_11:
	s_and_not1_b32 vcc_lo, exec_lo, s0
	s_cbranch_vccnz .LBB11_14
; %bb.12:
	v_mul_hi_u32 v0, s6, v6
	s_and_not1_b32 vcc_lo, exec_lo, s11
	s_delay_alu instid0(VALU_DEP_1) | instskip(NEXT) | instid1(VALU_DEP_1)
	v_add_nc_u32_e32 v0, v6, v0
	v_lshrrev_b32_e32 v3, s7, v0
	s_delay_alu instid0(VALU_DEP_1) | instskip(NEXT) | instid1(VALU_DEP_1)
	v_mul_lo_u32 v0, v3, s5
	v_sub_nc_u32_e32 v0, v6, v0
	s_delay_alu instid0(VALU_DEP_1)
	v_mul_lo_u32 v2, v0, s24
	v_mul_lo_u32 v1, v0, s25
	;; [unrolled: 1-line block ×3, first 2 shown]
	s_cbranch_vccnz .LBB11_14
; %bb.13:
	v_mul_hi_u32 v4, s9, v3
	s_delay_alu instid0(VALU_DEP_1) | instskip(NEXT) | instid1(VALU_DEP_1)
	v_add_nc_u32_e32 v4, v3, v4
	v_lshrrev_b32_e32 v4, s10, v4
	s_delay_alu instid0(VALU_DEP_1) | instskip(NEXT) | instid1(VALU_DEP_1)
	v_mul_lo_u32 v4, v4, s8
	v_sub_nc_u32_e32 v10, v3, v4
	s_delay_alu instid0(VALU_DEP_1) | instskip(SKIP_2) | instid1(VALU_DEP_2)
	v_mad_u64_u32 v[3:4], null, v10, s27, v[2:3]
	v_mad_u64_u32 v[4:5], null, v10, s12, v[1:2]
	;; [unrolled: 1-line block ×3, first 2 shown]
	v_dual_mov_b32 v2, v3 :: v_dual_mov_b32 v1, v4
	s_delay_alu instid0(VALU_DEP_2)
	v_mov_b32_e32 v0, v8
.LBB11_14:
	s_and_not1_b32 vcc_lo, exec_lo, s4
	s_cbranch_vccnz .LBB11_17
; %bb.15:
	global_load_u16 v8, v2, s[20:21]
	v_add_co_u32 v2, s0, s20, v2
	s_delay_alu instid0(VALU_DEP_1) | instskip(SKIP_1) | instid1(VALU_DEP_1)
	v_add_co_ci_u32_e64 v3, null, s21, 0, s0
	v_add_co_u32 v4, s0, s22, v1
	v_add_co_ci_u32_e64 v5, null, s23, 0, s0
	v_add_co_u32 v0, s0, s2, v0
	s_delay_alu instid0(VALU_DEP_1)
	v_add_co_ci_u32_e64 v1, null, s3, 0, s0
	s_ashr_i32 s19, s18, 31
	s_ashr_i32 s29, s17, 31
	s_mov_b32 s28, s17
	s_lshl_b64 s[14:15], s[18:19], 1
	s_lshl_b64 s[28:29], s[28:29], 1
	s_mov_b32 s19, s16
	s_set_inst_prefetch_distance 0x1
	.p2align	6
.LBB11_16:                              ; =>This Inner Loop Header: Depth=1
	global_load_u16 v9, v[0:1], off
	global_load_u16 v10, v[4:5], off
	s_add_i32 s19, s19, -1
	s_delay_alu instid0(SALU_CYCLE_1) | instskip(SKIP_4) | instid1(VALU_DEP_1)
	s_cmp_lg_u32 s19, 0
	s_waitcnt vmcnt(1)
	v_lshlrev_b32_e32 v9, 16, v9
	s_waitcnt vmcnt(0)
	v_lshlrev_b32_e32 v10, 16, v10
	v_mul_f32_e32 v9, v10, v9
	s_delay_alu instid0(VALU_DEP_1) | instskip(NEXT) | instid1(VALU_DEP_1)
	v_bfe_u32 v10, v9, 16, 1
	v_add3_u32 v10, v9, v10, 0x7fff
	s_delay_alu instid0(VALU_DEP_1) | instskip(SKIP_1) | instid1(VALU_DEP_2)
	v_and_b32_e32 v10, 0xffff0000, v10
	v_cmp_o_f32_e32 vcc_lo, v9, v9
	v_dual_cndmask_b32 v9, 0x7fc00000, v10 :: v_dual_lshlrev_b32 v8, 16, v8
	v_add_co_u32 v0, vcc_lo, v0, s14
	v_add_co_ci_u32_e32 v1, vcc_lo, s15, v1, vcc_lo
	s_delay_alu instid0(VALU_DEP_3) | instskip(SKIP_2) | instid1(VALU_DEP_3)
	v_add_f32_e32 v8, v9, v8
	v_add_co_u32 v4, vcc_lo, v4, s28
	v_add_co_ci_u32_e32 v5, vcc_lo, s29, v5, vcc_lo
	v_bfe_u32 v9, v8, 16, 1
	v_cmp_o_f32_e64 s0, v8, v8
	s_delay_alu instid0(VALU_DEP_2) | instskip(NEXT) | instid1(VALU_DEP_1)
	v_add3_u32 v9, v8, v9, 0x7fff
	v_lshrrev_b32_e32 v9, 16, v9
	s_delay_alu instid0(VALU_DEP_1)
	v_cndmask_b32_e64 v8, 0x7fc0, v9, s0
	global_store_b16 v[2:3], v8, off
	s_cbranch_scc1 .LBB11_16
.LBB11_17:
	s_set_inst_prefetch_distance 0x2
	v_add_nc_u32_e32 v6, 0x100, v6
	s_or_b32 exec_lo, exec_lo, s35
	s_delay_alu instid0(SALU_CYCLE_1) | instskip(NEXT) | instid1(VALU_DEP_1)
	s_mov_b32 s35, exec_lo
	v_cmpx_gt_i32_e64 s33, v6
	s_cbranch_execz .LBB11_2
.LBB11_18:
	v_cmp_ne_u32_e32 vcc_lo, 1, v7
	s_cbranch_vccnz .LBB11_24
; %bb.19:
	v_dual_mov_b32 v2, 0 :: v_dual_mov_b32 v1, 0
	v_mov_b32_e32 v0, 0
	s_and_not1_b32 vcc_lo, exec_lo, s34
	s_mov_b32 s0, 0
	s_cbranch_vccnz .LBB11_25
; %bb.20:
	s_add_i32 s14, s30, 1
	v_dual_mov_b32 v0, 0 :: v_dual_mov_b32 v1, 0
	v_dual_mov_b32 v2, 0 :: v_dual_mov_b32 v3, v6
	s_and_b32 s19, s14, 30
	s_add_u32 s14, s31, 0xffffffec
	s_addc_u32 s15, s1, -1
	s_set_inst_prefetch_distance 0x1
	.p2align	6
.LBB11_21:                              ; =>This Inner Loop Header: Depth=1
	s_clause 0x2
	s_load_b128 s[36:39], s[14:15], 0x18
	s_load_b64 s[28:29], s[14:15], 0x28
	s_load_b128 s[40:43], s[14:15], 0xd8
	s_waitcnt lgkmcnt(0)
	v_mul_hi_u32 v4, s37, v3
	s_delay_alu instid0(VALU_DEP_1) | instskip(NEXT) | instid1(VALU_DEP_1)
	v_add_nc_u32_e32 v4, v3, v4
	v_lshrrev_b32_e32 v4, s38, v4
	s_delay_alu instid0(VALU_DEP_1)
	v_mul_hi_u32 v5, s28, v4
	v_mul_lo_u32 v8, v4, s36
	s_load_b64 s[36:37], s[14:15], 0xe8
	s_add_u32 s14, s14, 24
	s_addc_u32 s15, s15, 0
	s_add_i32 s19, s19, -2
	s_delay_alu instid0(SALU_CYCLE_1) | instskip(NEXT) | instid1(VALU_DEP_2)
	s_cmp_eq_u32 s19, 0
	v_add_nc_u32_e32 v5, v4, v5
	s_delay_alu instid0(VALU_DEP_2) | instskip(NEXT) | instid1(VALU_DEP_2)
	v_sub_nc_u32_e32 v8, v3, v8
	v_lshrrev_b32_e32 v3, s29, v5
	s_delay_alu instid0(VALU_DEP_2) | instskip(NEXT) | instid1(VALU_DEP_2)
	v_mul_lo_u32 v9, v8, s40
	v_mul_lo_u32 v5, v3, s39
	s_delay_alu instid0(VALU_DEP_1) | instskip(SKIP_2) | instid1(VALU_DEP_3)
	v_sub_nc_u32_e32 v4, v4, v5
	v_mul_lo_u32 v5, v8, s41
	v_mul_lo_u32 v8, v8, s42
	v_mul_lo_u32 v10, v4, s43
	s_waitcnt lgkmcnt(0)
	v_mul_lo_u32 v11, v4, s36
	v_mul_lo_u32 v4, v4, s37
	s_delay_alu instid0(VALU_DEP_3) | instskip(NEXT) | instid1(VALU_DEP_3)
	v_add3_u32 v2, v9, v2, v10
	v_add3_u32 v1, v5, v1, v11
	s_delay_alu instid0(VALU_DEP_3)
	v_add3_u32 v0, v8, v0, v4
	s_cbranch_scc0 .LBB11_21
; %bb.22:
	s_set_inst_prefetch_distance 0x2
	s_bitcmp1_b32 s30, 0
	s_cselect_b32 s19, -1, 0
	s_delay_alu instid0(SALU_CYCLE_1)
	s_and_b32 vcc_lo, exec_lo, s19
	s_cbranch_vccnz .LBB11_25
; %bb.23:
	s_clause 0x3
	s_load_b64 s[28:29], s[14:15], 0x18
	s_load_b32 s19, s[14:15], 0x20
	s_load_b64 s[36:37], s[14:15], 0xd8
	s_load_b32 s14, s[14:15], 0xe0
	s_waitcnt lgkmcnt(0)
	v_mul_hi_u32 v4, s29, v3
	s_delay_alu instid0(VALU_DEP_1) | instskip(NEXT) | instid1(VALU_DEP_1)
	v_add_nc_u32_e32 v4, v3, v4
	v_lshrrev_b32_e32 v4, s19, v4
	s_delay_alu instid0(VALU_DEP_1) | instskip(NEXT) | instid1(VALU_DEP_1)
	v_mul_lo_u32 v4, v4, s28
	v_sub_nc_u32_e32 v10, v3, v4
	s_delay_alu instid0(VALU_DEP_1) | instskip(SKIP_2) | instid1(VALU_DEP_2)
	v_mad_u64_u32 v[3:4], null, v10, s36, v[2:3]
	v_mad_u64_u32 v[4:5], null, v10, s37, v[1:2]
	v_mad_u64_u32 v[8:9], null, v10, s14, v[0:1]
	v_dual_mov_b32 v2, v3 :: v_dual_mov_b32 v1, v4
	s_delay_alu instid0(VALU_DEP_2)
	v_mov_b32_e32 v0, v8
	s_branch .LBB11_25
.LBB11_24:
	s_mov_b32 s0, -1
                                        ; implicit-def: $vgpr2
                                        ; implicit-def: $vgpr1
                                        ; implicit-def: $vgpr0
.LBB11_25:
	s_delay_alu instid0(SALU_CYCLE_1)
	s_and_not1_b32 vcc_lo, exec_lo, s0
	s_cbranch_vccnz .LBB11_28
; %bb.26:
	v_mul_hi_u32 v0, s6, v6
	s_and_not1_b32 vcc_lo, exec_lo, s11
	s_delay_alu instid0(VALU_DEP_1) | instskip(NEXT) | instid1(VALU_DEP_1)
	v_add_nc_u32_e32 v0, v6, v0
	v_lshrrev_b32_e32 v3, s7, v0
	s_delay_alu instid0(VALU_DEP_1) | instskip(NEXT) | instid1(VALU_DEP_1)
	v_mul_lo_u32 v0, v3, s5
	v_sub_nc_u32_e32 v0, v6, v0
	s_delay_alu instid0(VALU_DEP_1)
	v_mul_lo_u32 v2, v0, s24
	v_mul_lo_u32 v1, v0, s25
	;; [unrolled: 1-line block ×3, first 2 shown]
	s_cbranch_vccnz .LBB11_28
; %bb.27:
	v_mul_hi_u32 v4, s9, v3
	s_delay_alu instid0(VALU_DEP_1) | instskip(NEXT) | instid1(VALU_DEP_1)
	v_add_nc_u32_e32 v4, v3, v4
	v_lshrrev_b32_e32 v4, s10, v4
	s_delay_alu instid0(VALU_DEP_1) | instskip(NEXT) | instid1(VALU_DEP_1)
	v_mul_lo_u32 v4, v4, s8
	v_sub_nc_u32_e32 v10, v3, v4
	s_delay_alu instid0(VALU_DEP_1) | instskip(SKIP_2) | instid1(VALU_DEP_2)
	v_mad_u64_u32 v[3:4], null, v10, s27, v[2:3]
	v_mad_u64_u32 v[4:5], null, v10, s12, v[1:2]
	;; [unrolled: 1-line block ×3, first 2 shown]
	v_dual_mov_b32 v2, v3 :: v_dual_mov_b32 v1, v4
	s_delay_alu instid0(VALU_DEP_2)
	v_mov_b32_e32 v0, v8
.LBB11_28:
	s_and_not1_b32 vcc_lo, exec_lo, s4
	s_cbranch_vccnz .LBB11_31
; %bb.29:
	global_load_u16 v8, v2, s[20:21]
	v_add_co_u32 v2, s0, s20, v2
	s_delay_alu instid0(VALU_DEP_1) | instskip(SKIP_1) | instid1(VALU_DEP_1)
	v_add_co_ci_u32_e64 v3, null, s21, 0, s0
	v_add_co_u32 v4, s0, s22, v1
	v_add_co_ci_u32_e64 v5, null, s23, 0, s0
	v_add_co_u32 v0, s0, s2, v0
	s_delay_alu instid0(VALU_DEP_1)
	v_add_co_ci_u32_e64 v1, null, s3, 0, s0
	s_ashr_i32 s19, s18, 31
	s_ashr_i32 s29, s17, 31
	s_mov_b32 s28, s17
	s_lshl_b64 s[14:15], s[18:19], 1
	s_lshl_b64 s[28:29], s[28:29], 1
	s_mov_b32 s19, s16
	s_set_inst_prefetch_distance 0x1
	.p2align	6
.LBB11_30:                              ; =>This Inner Loop Header: Depth=1
	global_load_u16 v9, v[0:1], off
	global_load_u16 v10, v[4:5], off
	s_add_i32 s19, s19, -1
	s_delay_alu instid0(SALU_CYCLE_1) | instskip(SKIP_4) | instid1(VALU_DEP_1)
	s_cmp_lg_u32 s19, 0
	s_waitcnt vmcnt(1)
	v_lshlrev_b32_e32 v9, 16, v9
	s_waitcnt vmcnt(0)
	v_lshlrev_b32_e32 v10, 16, v10
	v_mul_f32_e32 v9, v10, v9
	s_delay_alu instid0(VALU_DEP_1) | instskip(NEXT) | instid1(VALU_DEP_1)
	v_bfe_u32 v10, v9, 16, 1
	v_add3_u32 v10, v9, v10, 0x7fff
	s_delay_alu instid0(VALU_DEP_1) | instskip(SKIP_1) | instid1(VALU_DEP_2)
	v_and_b32_e32 v10, 0xffff0000, v10
	v_cmp_o_f32_e32 vcc_lo, v9, v9
	v_dual_cndmask_b32 v9, 0x7fc00000, v10 :: v_dual_lshlrev_b32 v8, 16, v8
	v_add_co_u32 v0, vcc_lo, v0, s14
	v_add_co_ci_u32_e32 v1, vcc_lo, s15, v1, vcc_lo
	s_delay_alu instid0(VALU_DEP_3) | instskip(SKIP_2) | instid1(VALU_DEP_3)
	v_add_f32_e32 v8, v9, v8
	v_add_co_u32 v4, vcc_lo, v4, s28
	v_add_co_ci_u32_e32 v5, vcc_lo, s29, v5, vcc_lo
	v_bfe_u32 v9, v8, 16, 1
	v_cmp_o_f32_e64 s0, v8, v8
	s_delay_alu instid0(VALU_DEP_2) | instskip(NEXT) | instid1(VALU_DEP_1)
	v_add3_u32 v9, v8, v9, 0x7fff
	v_lshrrev_b32_e32 v9, 16, v9
	s_delay_alu instid0(VALU_DEP_1)
	v_cndmask_b32_e64 v8, 0x7fc0, v9, s0
	global_store_b16 v[2:3], v8, off
	s_cbranch_scc1 .LBB11_30
.LBB11_31:
	s_set_inst_prefetch_distance 0x2
	v_add_nc_u32_e32 v6, 0x100, v6
	s_or_b32 exec_lo, exec_lo, s35
	s_delay_alu instid0(SALU_CYCLE_1) | instskip(NEXT) | instid1(VALU_DEP_1)
	s_mov_b32 s35, exec_lo
	v_cmpx_gt_i32_e64 s33, v6
	s_cbranch_execz .LBB11_3
.LBB11_32:
	v_cmp_ne_u32_e32 vcc_lo, 1, v7
	s_cbranch_vccnz .LBB11_38
; %bb.33:
	v_dual_mov_b32 v2, 0 :: v_dual_mov_b32 v1, 0
	v_mov_b32_e32 v0, 0
	s_and_not1_b32 vcc_lo, exec_lo, s34
	s_mov_b32 s0, 0
	s_cbranch_vccnz .LBB11_39
; %bb.34:
	s_add_i32 s14, s30, 1
	v_dual_mov_b32 v0, 0 :: v_dual_mov_b32 v1, 0
	v_dual_mov_b32 v2, 0 :: v_dual_mov_b32 v3, v6
	s_and_b32 s19, s14, 30
	s_add_u32 s14, s31, 0xffffffec
	s_addc_u32 s15, s1, -1
	s_set_inst_prefetch_distance 0x1
	.p2align	6
.LBB11_35:                              ; =>This Inner Loop Header: Depth=1
	s_clause 0x2
	s_load_b128 s[36:39], s[14:15], 0x18
	s_load_b64 s[28:29], s[14:15], 0x28
	s_load_b128 s[40:43], s[14:15], 0xd8
	s_waitcnt lgkmcnt(0)
	v_mul_hi_u32 v4, s37, v3
	s_delay_alu instid0(VALU_DEP_1) | instskip(NEXT) | instid1(VALU_DEP_1)
	v_add_nc_u32_e32 v4, v3, v4
	v_lshrrev_b32_e32 v4, s38, v4
	s_delay_alu instid0(VALU_DEP_1)
	v_mul_hi_u32 v5, s28, v4
	v_mul_lo_u32 v8, v4, s36
	s_load_b64 s[36:37], s[14:15], 0xe8
	s_add_u32 s14, s14, 24
	s_addc_u32 s15, s15, 0
	s_add_i32 s19, s19, -2
	s_delay_alu instid0(SALU_CYCLE_1) | instskip(NEXT) | instid1(VALU_DEP_2)
	s_cmp_eq_u32 s19, 0
	v_add_nc_u32_e32 v5, v4, v5
	s_delay_alu instid0(VALU_DEP_2) | instskip(NEXT) | instid1(VALU_DEP_2)
	v_sub_nc_u32_e32 v8, v3, v8
	v_lshrrev_b32_e32 v3, s29, v5
	s_delay_alu instid0(VALU_DEP_2) | instskip(NEXT) | instid1(VALU_DEP_2)
	v_mul_lo_u32 v9, v8, s40
	v_mul_lo_u32 v5, v3, s39
	s_delay_alu instid0(VALU_DEP_1) | instskip(SKIP_2) | instid1(VALU_DEP_3)
	v_sub_nc_u32_e32 v4, v4, v5
	v_mul_lo_u32 v5, v8, s41
	v_mul_lo_u32 v8, v8, s42
	;; [unrolled: 1-line block ×3, first 2 shown]
	s_waitcnt lgkmcnt(0)
	v_mul_lo_u32 v11, v4, s36
	v_mul_lo_u32 v4, v4, s37
	s_delay_alu instid0(VALU_DEP_3) | instskip(NEXT) | instid1(VALU_DEP_3)
	v_add3_u32 v2, v9, v2, v10
	v_add3_u32 v1, v5, v1, v11
	s_delay_alu instid0(VALU_DEP_3)
	v_add3_u32 v0, v8, v0, v4
	s_cbranch_scc0 .LBB11_35
; %bb.36:
	s_set_inst_prefetch_distance 0x2
	s_bitcmp1_b32 s30, 0
	s_cselect_b32 s19, -1, 0
	s_delay_alu instid0(SALU_CYCLE_1)
	s_and_b32 vcc_lo, exec_lo, s19
	s_cbranch_vccnz .LBB11_39
; %bb.37:
	s_clause 0x3
	s_load_b64 s[28:29], s[14:15], 0x18
	s_load_b32 s19, s[14:15], 0x20
	s_load_b64 s[36:37], s[14:15], 0xd8
	s_load_b32 s14, s[14:15], 0xe0
	s_waitcnt lgkmcnt(0)
	v_mul_hi_u32 v4, s29, v3
	s_delay_alu instid0(VALU_DEP_1) | instskip(NEXT) | instid1(VALU_DEP_1)
	v_add_nc_u32_e32 v4, v3, v4
	v_lshrrev_b32_e32 v4, s19, v4
	s_delay_alu instid0(VALU_DEP_1) | instskip(NEXT) | instid1(VALU_DEP_1)
	v_mul_lo_u32 v4, v4, s28
	v_sub_nc_u32_e32 v10, v3, v4
	s_delay_alu instid0(VALU_DEP_1) | instskip(SKIP_2) | instid1(VALU_DEP_2)
	v_mad_u64_u32 v[3:4], null, v10, s36, v[2:3]
	v_mad_u64_u32 v[4:5], null, v10, s37, v[1:2]
	;; [unrolled: 1-line block ×3, first 2 shown]
	v_dual_mov_b32 v2, v3 :: v_dual_mov_b32 v1, v4
	s_delay_alu instid0(VALU_DEP_2)
	v_mov_b32_e32 v0, v8
	s_branch .LBB11_39
.LBB11_38:
	s_mov_b32 s0, -1
                                        ; implicit-def: $vgpr2
                                        ; implicit-def: $vgpr1
                                        ; implicit-def: $vgpr0
.LBB11_39:
	s_delay_alu instid0(SALU_CYCLE_1)
	s_and_not1_b32 vcc_lo, exec_lo, s0
	s_cbranch_vccnz .LBB11_42
; %bb.40:
	v_mul_hi_u32 v0, s6, v6
	s_and_not1_b32 vcc_lo, exec_lo, s11
	s_delay_alu instid0(VALU_DEP_1) | instskip(NEXT) | instid1(VALU_DEP_1)
	v_add_nc_u32_e32 v0, v6, v0
	v_lshrrev_b32_e32 v3, s7, v0
	s_delay_alu instid0(VALU_DEP_1) | instskip(NEXT) | instid1(VALU_DEP_1)
	v_mul_lo_u32 v0, v3, s5
	v_sub_nc_u32_e32 v0, v6, v0
	s_delay_alu instid0(VALU_DEP_1)
	v_mul_lo_u32 v2, v0, s24
	v_mul_lo_u32 v1, v0, s25
	;; [unrolled: 1-line block ×3, first 2 shown]
	s_cbranch_vccnz .LBB11_42
; %bb.41:
	v_mul_hi_u32 v4, s9, v3
	s_delay_alu instid0(VALU_DEP_1) | instskip(NEXT) | instid1(VALU_DEP_1)
	v_add_nc_u32_e32 v4, v3, v4
	v_lshrrev_b32_e32 v4, s10, v4
	s_delay_alu instid0(VALU_DEP_1) | instskip(NEXT) | instid1(VALU_DEP_1)
	v_mul_lo_u32 v4, v4, s8
	v_sub_nc_u32_e32 v10, v3, v4
	s_delay_alu instid0(VALU_DEP_1) | instskip(SKIP_2) | instid1(VALU_DEP_2)
	v_mad_u64_u32 v[3:4], null, v10, s27, v[2:3]
	v_mad_u64_u32 v[4:5], null, v10, s12, v[1:2]
	v_mad_u64_u32 v[8:9], null, v10, s13, v[0:1]
	v_dual_mov_b32 v2, v3 :: v_dual_mov_b32 v1, v4
	s_delay_alu instid0(VALU_DEP_2)
	v_mov_b32_e32 v0, v8
.LBB11_42:
	s_and_not1_b32 vcc_lo, exec_lo, s4
	s_cbranch_vccnz .LBB11_45
; %bb.43:
	global_load_u16 v8, v2, s[20:21]
	v_add_co_u32 v2, s0, s20, v2
	s_delay_alu instid0(VALU_DEP_1) | instskip(SKIP_1) | instid1(VALU_DEP_1)
	v_add_co_ci_u32_e64 v3, null, s21, 0, s0
	v_add_co_u32 v4, s0, s22, v1
	v_add_co_ci_u32_e64 v5, null, s23, 0, s0
	v_add_co_u32 v0, s0, s2, v0
	s_delay_alu instid0(VALU_DEP_1)
	v_add_co_ci_u32_e64 v1, null, s3, 0, s0
	s_ashr_i32 s19, s18, 31
	s_ashr_i32 s29, s17, 31
	s_mov_b32 s28, s17
	s_lshl_b64 s[14:15], s[18:19], 1
	s_lshl_b64 s[28:29], s[28:29], 1
	s_mov_b32 s19, s16
	s_set_inst_prefetch_distance 0x1
	.p2align	6
.LBB11_44:                              ; =>This Inner Loop Header: Depth=1
	global_load_u16 v9, v[0:1], off
	global_load_u16 v10, v[4:5], off
	s_add_i32 s19, s19, -1
	s_delay_alu instid0(SALU_CYCLE_1) | instskip(SKIP_4) | instid1(VALU_DEP_1)
	s_cmp_lg_u32 s19, 0
	s_waitcnt vmcnt(1)
	v_lshlrev_b32_e32 v9, 16, v9
	s_waitcnt vmcnt(0)
	v_lshlrev_b32_e32 v10, 16, v10
	v_mul_f32_e32 v9, v10, v9
	s_delay_alu instid0(VALU_DEP_1) | instskip(NEXT) | instid1(VALU_DEP_1)
	v_bfe_u32 v10, v9, 16, 1
	v_add3_u32 v10, v9, v10, 0x7fff
	s_delay_alu instid0(VALU_DEP_1) | instskip(SKIP_1) | instid1(VALU_DEP_2)
	v_and_b32_e32 v10, 0xffff0000, v10
	v_cmp_o_f32_e32 vcc_lo, v9, v9
	v_dual_cndmask_b32 v9, 0x7fc00000, v10 :: v_dual_lshlrev_b32 v8, 16, v8
	v_add_co_u32 v0, vcc_lo, v0, s14
	v_add_co_ci_u32_e32 v1, vcc_lo, s15, v1, vcc_lo
	s_delay_alu instid0(VALU_DEP_3) | instskip(SKIP_2) | instid1(VALU_DEP_3)
	v_add_f32_e32 v8, v9, v8
	v_add_co_u32 v4, vcc_lo, v4, s28
	v_add_co_ci_u32_e32 v5, vcc_lo, s29, v5, vcc_lo
	v_bfe_u32 v9, v8, 16, 1
	v_cmp_o_f32_e64 s0, v8, v8
	s_delay_alu instid0(VALU_DEP_2) | instskip(NEXT) | instid1(VALU_DEP_1)
	v_add3_u32 v9, v8, v9, 0x7fff
	v_lshrrev_b32_e32 v9, 16, v9
	s_delay_alu instid0(VALU_DEP_1)
	v_cndmask_b32_e64 v8, 0x7fc0, v9, s0
	global_store_b16 v[2:3], v8, off
	s_cbranch_scc1 .LBB11_44
.LBB11_45:
	s_set_inst_prefetch_distance 0x2
	v_add_nc_u32_e32 v6, 0x100, v6
	s_or_b32 exec_lo, exec_lo, s35
	s_delay_alu instid0(SALU_CYCLE_1) | instskip(NEXT) | instid1(VALU_DEP_1)
	s_mov_b32 s0, exec_lo
	v_cmpx_gt_i32_e64 s33, v6
	s_cbranch_execz .LBB11_59
.LBB11_46:
	v_cmp_ne_u32_e32 vcc_lo, 1, v7
	s_cbranch_vccnz .LBB11_52
; %bb.47:
	v_dual_mov_b32 v2, 0 :: v_dual_mov_b32 v1, 0
	v_mov_b32_e32 v0, 0
	s_and_not1_b32 vcc_lo, exec_lo, s34
	s_mov_b32 s14, 0
	s_cbranch_vccnz .LBB11_53
; %bb.48:
	s_add_i32 s0, s30, 1
	v_dual_mov_b32 v0, 0 :: v_dual_mov_b32 v1, 0
	v_dual_mov_b32 v2, 0 :: v_dual_mov_b32 v3, v6
	s_and_b32 s15, s0, 30
	s_add_u32 s0, s31, 0xffffffec
	s_addc_u32 s1, s1, -1
	s_set_inst_prefetch_distance 0x1
	.p2align	6
.LBB11_49:                              ; =>This Inner Loop Header: Depth=1
	s_clause 0x3
	s_load_b128 s[36:39], s[0:1], 0x18
	s_load_b64 s[28:29], s[0:1], 0x28
	s_load_b128 s[40:43], s[0:1], 0xd8
	s_load_b64 s[34:35], s[0:1], 0xe8
	s_add_u32 s0, s0, 24
	s_addc_u32 s1, s1, 0
	s_add_i32 s15, s15, -2
	s_delay_alu instid0(SALU_CYCLE_1) | instskip(SKIP_2) | instid1(VALU_DEP_1)
	s_cmp_eq_u32 s15, 0
	s_waitcnt lgkmcnt(0)
	v_mul_hi_u32 v4, s37, v3
	v_add_nc_u32_e32 v4, v3, v4
	s_delay_alu instid0(VALU_DEP_1) | instskip(NEXT) | instid1(VALU_DEP_1)
	v_lshrrev_b32_e32 v4, s38, v4
	v_mul_hi_u32 v5, s28, v4
	v_mul_lo_u32 v7, v4, s36
	s_delay_alu instid0(VALU_DEP_2) | instskip(NEXT) | instid1(VALU_DEP_2)
	v_add_nc_u32_e32 v5, v4, v5
	v_sub_nc_u32_e32 v7, v3, v7
	s_delay_alu instid0(VALU_DEP_2) | instskip(NEXT) | instid1(VALU_DEP_2)
	v_lshrrev_b32_e32 v3, s29, v5
	v_mul_lo_u32 v8, v7, s40
	s_delay_alu instid0(VALU_DEP_2) | instskip(NEXT) | instid1(VALU_DEP_1)
	v_mul_lo_u32 v5, v3, s39
	v_sub_nc_u32_e32 v4, v4, v5
	v_mul_lo_u32 v5, v7, s41
	v_mul_lo_u32 v7, v7, s42
	s_delay_alu instid0(VALU_DEP_3) | instskip(SKIP_2) | instid1(VALU_DEP_3)
	v_mul_lo_u32 v9, v4, s43
	v_mul_lo_u32 v10, v4, s34
	;; [unrolled: 1-line block ×3, first 2 shown]
	v_add3_u32 v2, v8, v2, v9
	s_delay_alu instid0(VALU_DEP_3) | instskip(NEXT) | instid1(VALU_DEP_3)
	v_add3_u32 v1, v5, v1, v10
	v_add3_u32 v0, v7, v0, v4
	s_cbranch_scc0 .LBB11_49
; %bb.50:
	s_set_inst_prefetch_distance 0x2
	s_bitcmp1_b32 s30, 0
	s_cselect_b32 s15, -1, 0
	s_delay_alu instid0(SALU_CYCLE_1)
	s_and_b32 vcc_lo, exec_lo, s15
	s_cbranch_vccnz .LBB11_53
; %bb.51:
	s_clause 0x3
	s_load_b64 s[28:29], s[0:1], 0x18
	s_load_b32 s15, s[0:1], 0x20
	s_load_b64 s[30:31], s[0:1], 0xd8
	s_load_b32 s0, s[0:1], 0xe0
	s_waitcnt lgkmcnt(0)
	v_mul_hi_u32 v4, s29, v3
	s_delay_alu instid0(VALU_DEP_1) | instskip(NEXT) | instid1(VALU_DEP_1)
	v_add_nc_u32_e32 v4, v3, v4
	v_lshrrev_b32_e32 v4, s15, v4
	s_delay_alu instid0(VALU_DEP_1) | instskip(NEXT) | instid1(VALU_DEP_1)
	v_mul_lo_u32 v4, v4, s28
	v_sub_nc_u32_e32 v9, v3, v4
	s_delay_alu instid0(VALU_DEP_1) | instskip(SKIP_2) | instid1(VALU_DEP_2)
	v_mad_u64_u32 v[3:4], null, v9, s30, v[2:3]
	v_mad_u64_u32 v[4:5], null, v9, s31, v[1:2]
	;; [unrolled: 1-line block ×3, first 2 shown]
	v_dual_mov_b32 v2, v3 :: v_dual_mov_b32 v1, v4
	s_delay_alu instid0(VALU_DEP_2)
	v_mov_b32_e32 v0, v7
	s_branch .LBB11_53
.LBB11_52:
	s_mov_b32 s14, -1
                                        ; implicit-def: $vgpr2
                                        ; implicit-def: $vgpr1
                                        ; implicit-def: $vgpr0
.LBB11_53:
	s_delay_alu instid0(SALU_CYCLE_1)
	s_and_not1_b32 vcc_lo, exec_lo, s14
	s_cbranch_vccnz .LBB11_56
; %bb.54:
	v_mul_hi_u32 v0, s6, v6
	s_and_not1_b32 vcc_lo, exec_lo, s11
	s_delay_alu instid0(VALU_DEP_1) | instskip(NEXT) | instid1(VALU_DEP_1)
	v_add_nc_u32_e32 v0, v6, v0
	v_lshrrev_b32_e32 v3, s7, v0
	s_delay_alu instid0(VALU_DEP_1) | instskip(NEXT) | instid1(VALU_DEP_1)
	v_mul_lo_u32 v0, v3, s5
	v_sub_nc_u32_e32 v0, v6, v0
	s_delay_alu instid0(VALU_DEP_1)
	v_mul_lo_u32 v2, v0, s24
	v_mul_lo_u32 v1, v0, s25
	;; [unrolled: 1-line block ×3, first 2 shown]
	s_cbranch_vccnz .LBB11_56
; %bb.55:
	v_mul_hi_u32 v4, s9, v3
	s_delay_alu instid0(VALU_DEP_1) | instskip(NEXT) | instid1(VALU_DEP_1)
	v_add_nc_u32_e32 v4, v3, v4
	v_lshrrev_b32_e32 v4, s10, v4
	s_delay_alu instid0(VALU_DEP_1) | instskip(NEXT) | instid1(VALU_DEP_1)
	v_mul_lo_u32 v4, v4, s8
	v_sub_nc_u32_e32 v7, v3, v4
	s_delay_alu instid0(VALU_DEP_1) | instskip(SKIP_2) | instid1(VALU_DEP_2)
	v_mad_u64_u32 v[3:4], null, v7, s27, v[2:3]
	v_mad_u64_u32 v[4:5], null, v7, s12, v[1:2]
	;; [unrolled: 1-line block ×3, first 2 shown]
	v_dual_mov_b32 v2, v3 :: v_dual_mov_b32 v1, v4
	s_delay_alu instid0(VALU_DEP_2)
	v_mov_b32_e32 v0, v5
.LBB11_56:
	s_and_not1_b32 vcc_lo, exec_lo, s4
	s_cbranch_vccnz .LBB11_59
; %bb.57:
	global_load_u16 v6, v2, s[20:21]
	v_add_co_u32 v2, s0, s20, v2
	s_delay_alu instid0(VALU_DEP_1) | instskip(SKIP_1) | instid1(VALU_DEP_1)
	v_add_co_ci_u32_e64 v3, null, s21, 0, s0
	v_add_co_u32 v4, s0, s22, v1
	v_add_co_ci_u32_e64 v5, null, s23, 0, s0
	v_add_co_u32 v0, s0, s2, v0
	s_delay_alu instid0(VALU_DEP_1)
	v_add_co_ci_u32_e64 v1, null, s3, 0, s0
	s_ashr_i32 s19, s18, 31
	s_ashr_i32 s1, s17, 31
	s_mov_b32 s0, s17
	s_lshl_b64 s[2:3], s[18:19], 1
	s_lshl_b64 s[4:5], s[0:1], 1
	s_set_inst_prefetch_distance 0x1
	.p2align	6
.LBB11_58:                              ; =>This Inner Loop Header: Depth=1
	global_load_u16 v7, v[0:1], off
	global_load_u16 v8, v[4:5], off
	s_add_i32 s16, s16, -1
	s_delay_alu instid0(SALU_CYCLE_1) | instskip(SKIP_4) | instid1(VALU_DEP_1)
	s_cmp_lg_u32 s16, 0
	s_waitcnt vmcnt(1)
	v_lshlrev_b32_e32 v7, 16, v7
	s_waitcnt vmcnt(0)
	v_lshlrev_b32_e32 v8, 16, v8
	v_mul_f32_e32 v7, v8, v7
	s_delay_alu instid0(VALU_DEP_1) | instskip(NEXT) | instid1(VALU_DEP_1)
	v_bfe_u32 v8, v7, 16, 1
	v_add3_u32 v8, v7, v8, 0x7fff
	s_delay_alu instid0(VALU_DEP_1) | instskip(SKIP_1) | instid1(VALU_DEP_2)
	v_and_b32_e32 v8, 0xffff0000, v8
	v_cmp_o_f32_e32 vcc_lo, v7, v7
	v_dual_cndmask_b32 v7, 0x7fc00000, v8 :: v_dual_lshlrev_b32 v6, 16, v6
	v_add_co_u32 v0, vcc_lo, v0, s2
	v_add_co_ci_u32_e32 v1, vcc_lo, s3, v1, vcc_lo
	s_delay_alu instid0(VALU_DEP_3) | instskip(SKIP_2) | instid1(VALU_DEP_3)
	v_add_f32_e32 v6, v7, v6
	v_add_co_u32 v4, vcc_lo, v4, s4
	v_add_co_ci_u32_e32 v5, vcc_lo, s5, v5, vcc_lo
	v_bfe_u32 v7, v6, 16, 1
	v_cmp_o_f32_e64 s0, v6, v6
	s_delay_alu instid0(VALU_DEP_2) | instskip(NEXT) | instid1(VALU_DEP_1)
	v_add3_u32 v7, v6, v7, 0x7fff
	v_lshrrev_b32_e32 v7, 16, v7
	s_delay_alu instid0(VALU_DEP_1)
	v_cndmask_b32_e64 v6, 0x7fc0, v7, s0
	global_store_b16 v[2:3], v6, off
	s_cbranch_scc1 .LBB11_58
.LBB11_59:
	s_set_inst_prefetch_distance 0x2
	s_nop 0
	s_sendmsg sendmsg(MSG_DEALLOC_VGPRS)
	s_endpgm
	.section	.rodata,"a",@progbits
	.p2align	6, 0x0
	.amdhsa_kernel _ZN2at6native12_GLOBAL__N_116_elemwise_kernelILi256ELi4EZNS1_43_compute_linear_combination_internal_kernelIN3c108BFloat16EEEvRNS_14TensorIteratorEiiiEUliE_EEviT1_
		.amdhsa_group_segment_fixed_size 0
		.amdhsa_private_segment_fixed_size 0
		.amdhsa_kernarg_size 440
		.amdhsa_user_sgpr_count 15
		.amdhsa_user_sgpr_dispatch_ptr 0
		.amdhsa_user_sgpr_queue_ptr 0
		.amdhsa_user_sgpr_kernarg_segment_ptr 1
		.amdhsa_user_sgpr_dispatch_id 0
		.amdhsa_user_sgpr_private_segment_size 0
		.amdhsa_wavefront_size32 1
		.amdhsa_uses_dynamic_stack 0
		.amdhsa_enable_private_segment 0
		.amdhsa_system_sgpr_workgroup_id_x 1
		.amdhsa_system_sgpr_workgroup_id_y 0
		.amdhsa_system_sgpr_workgroup_id_z 0
		.amdhsa_system_sgpr_workgroup_info 0
		.amdhsa_system_vgpr_workitem_id 0
		.amdhsa_next_free_vgpr 12
		.amdhsa_next_free_sgpr 44
		.amdhsa_reserve_vcc 1
		.amdhsa_float_round_mode_32 0
		.amdhsa_float_round_mode_16_64 0
		.amdhsa_float_denorm_mode_32 3
		.amdhsa_float_denorm_mode_16_64 3
		.amdhsa_dx10_clamp 1
		.amdhsa_ieee_mode 1
		.amdhsa_fp16_overflow 0
		.amdhsa_workgroup_processor_mode 1
		.amdhsa_memory_ordered 1
		.amdhsa_forward_progress 0
		.amdhsa_shared_vgpr_count 0
		.amdhsa_exception_fp_ieee_invalid_op 0
		.amdhsa_exception_fp_denorm_src 0
		.amdhsa_exception_fp_ieee_div_zero 0
		.amdhsa_exception_fp_ieee_overflow 0
		.amdhsa_exception_fp_ieee_underflow 0
		.amdhsa_exception_fp_ieee_inexact 0
		.amdhsa_exception_int_div_zero 0
	.end_amdhsa_kernel
	.section	.text._ZN2at6native12_GLOBAL__N_116_elemwise_kernelILi256ELi4EZNS1_43_compute_linear_combination_internal_kernelIN3c108BFloat16EEEvRNS_14TensorIteratorEiiiEUliE_EEviT1_,"axG",@progbits,_ZN2at6native12_GLOBAL__N_116_elemwise_kernelILi256ELi4EZNS1_43_compute_linear_combination_internal_kernelIN3c108BFloat16EEEvRNS_14TensorIteratorEiiiEUliE_EEviT1_,comdat
.Lfunc_end11:
	.size	_ZN2at6native12_GLOBAL__N_116_elemwise_kernelILi256ELi4EZNS1_43_compute_linear_combination_internal_kernelIN3c108BFloat16EEEvRNS_14TensorIteratorEiiiEUliE_EEviT1_, .Lfunc_end11-_ZN2at6native12_GLOBAL__N_116_elemwise_kernelILi256ELi4EZNS1_43_compute_linear_combination_internal_kernelIN3c108BFloat16EEEvRNS_14TensorIteratorEiiiEUliE_EEviT1_
                                        ; -- End function
	.section	.AMDGPU.csdata,"",@progbits
; Kernel info:
; codeLenInByte = 3960
; NumSgprs: 46
; NumVgprs: 12
; ScratchSize: 0
; MemoryBound: 0
; FloatMode: 240
; IeeeMode: 1
; LDSByteSize: 0 bytes/workgroup (compile time only)
; SGPRBlocks: 5
; VGPRBlocks: 1
; NumSGPRsForWavesPerEU: 46
; NumVGPRsForWavesPerEU: 12
; Occupancy: 16
; WaveLimiterHint : 1
; COMPUTE_PGM_RSRC2:SCRATCH_EN: 0
; COMPUTE_PGM_RSRC2:USER_SGPR: 15
; COMPUTE_PGM_RSRC2:TRAP_HANDLER: 0
; COMPUTE_PGM_RSRC2:TGID_X_EN: 1
; COMPUTE_PGM_RSRC2:TGID_Y_EN: 0
; COMPUTE_PGM_RSRC2:TGID_Z_EN: 0
; COMPUTE_PGM_RSRC2:TIDIG_COMP_CNT: 0
	.text
	.p2alignl 7, 3214868480
	.fill 96, 4, 3214868480
	.type	__hip_cuid_c8f755b4de07a74d,@object ; @__hip_cuid_c8f755b4de07a74d
	.section	.bss,"aw",@nobits
	.globl	__hip_cuid_c8f755b4de07a74d
__hip_cuid_c8f755b4de07a74d:
	.byte	0                               ; 0x0
	.size	__hip_cuid_c8f755b4de07a74d, 1

	.ident	"AMD clang version 19.0.0git (https://github.com/RadeonOpenCompute/llvm-project roc-6.4.0 25133 c7fe45cf4b819c5991fe208aaa96edf142730f1d)"
	.section	".note.GNU-stack","",@progbits
	.addrsig
	.addrsig_sym __hip_cuid_c8f755b4de07a74d
	.amdgpu_metadata
---
amdhsa.kernels:
  - .args:
      - .offset:         0
        .size:           4
        .value_kind:     by_value
      - .offset:         8
        .size:           432
        .value_kind:     by_value
    .group_segment_fixed_size: 0
    .kernarg_segment_align: 8
    .kernarg_segment_size: 440
    .language:       OpenCL C
    .language_version:
      - 2
      - 0
    .max_flat_workgroup_size: 256
    .name:           _ZN2at6native12_GLOBAL__N_116_elemwise_kernelILi256ELi4EZNS1_43_compute_linear_combination_internal_kernelIhEEvRNS_14TensorIteratorEiiiEUliE_EEviT1_
    .private_segment_fixed_size: 0
    .sgpr_count:     46
    .sgpr_spill_count: 0
    .symbol:         _ZN2at6native12_GLOBAL__N_116_elemwise_kernelILi256ELi4EZNS1_43_compute_linear_combination_internal_kernelIhEEvRNS_14TensorIteratorEiiiEUliE_EEviT1_.kd
    .uniform_work_group_size: 1
    .uses_dynamic_stack: false
    .vgpr_count:     12
    .vgpr_spill_count: 0
    .wavefront_size: 32
    .workgroup_processor_mode: 1
  - .args:
      - .offset:         0
        .size:           4
        .value_kind:     by_value
      - .offset:         8
        .size:           432
        .value_kind:     by_value
    .group_segment_fixed_size: 0
    .kernarg_segment_align: 8
    .kernarg_segment_size: 440
    .language:       OpenCL C
    .language_version:
      - 2
      - 0
    .max_flat_workgroup_size: 256
    .name:           _ZN2at6native12_GLOBAL__N_116_elemwise_kernelILi256ELi4EZNS1_43_compute_linear_combination_internal_kernelIaEEvRNS_14TensorIteratorEiiiEUliE_EEviT1_
    .private_segment_fixed_size: 0
    .sgpr_count:     46
    .sgpr_spill_count: 0
    .symbol:         _ZN2at6native12_GLOBAL__N_116_elemwise_kernelILi256ELi4EZNS1_43_compute_linear_combination_internal_kernelIaEEvRNS_14TensorIteratorEiiiEUliE_EEviT1_.kd
    .uniform_work_group_size: 1
    .uses_dynamic_stack: false
    .vgpr_count:     12
    .vgpr_spill_count: 0
    .wavefront_size: 32
    .workgroup_processor_mode: 1
  - .args:
      - .offset:         0
        .size:           4
        .value_kind:     by_value
      - .offset:         8
        .size:           432
        .value_kind:     by_value
    .group_segment_fixed_size: 0
    .kernarg_segment_align: 8
    .kernarg_segment_size: 440
    .language:       OpenCL C
    .language_version:
      - 2
      - 0
    .max_flat_workgroup_size: 256
    .name:           _ZN2at6native12_GLOBAL__N_116_elemwise_kernelILi256ELi4EZNS1_43_compute_linear_combination_internal_kernelIiEEvRNS_14TensorIteratorEiiiEUliE_EEviT1_
    .private_segment_fixed_size: 0
    .sgpr_count:     48
    .sgpr_spill_count: 0
    .symbol:         _ZN2at6native12_GLOBAL__N_116_elemwise_kernelILi256ELi4EZNS1_43_compute_linear_combination_internal_kernelIiEEvRNS_14TensorIteratorEiiiEUliE_EEviT1_.kd
    .uniform_work_group_size: 1
    .uses_dynamic_stack: false
    .vgpr_count:     13
    .vgpr_spill_count: 0
    .wavefront_size: 32
    .workgroup_processor_mode: 1
  - .args:
      - .offset:         0
        .size:           4
        .value_kind:     by_value
      - .offset:         8
        .size:           432
        .value_kind:     by_value
    .group_segment_fixed_size: 0
    .kernarg_segment_align: 8
    .kernarg_segment_size: 440
    .language:       OpenCL C
    .language_version:
      - 2
      - 0
    .max_flat_workgroup_size: 256
    .name:           _ZN2at6native12_GLOBAL__N_116_elemwise_kernelILi256ELi4EZNS1_43_compute_linear_combination_internal_kernelIlEEvRNS_14TensorIteratorEiiiEUliE_EEviT1_
    .private_segment_fixed_size: 0
    .sgpr_count:     48
    .sgpr_spill_count: 0
    .symbol:         _ZN2at6native12_GLOBAL__N_116_elemwise_kernelILi256ELi4EZNS1_43_compute_linear_combination_internal_kernelIlEEvRNS_14TensorIteratorEiiiEUliE_EEviT1_.kd
    .uniform_work_group_size: 1
    .uses_dynamic_stack: false
    .vgpr_count:     16
    .vgpr_spill_count: 0
    .wavefront_size: 32
    .workgroup_processor_mode: 1
  - .args:
      - .offset:         0
        .size:           4
        .value_kind:     by_value
      - .offset:         8
        .size:           432
        .value_kind:     by_value
    .group_segment_fixed_size: 0
    .kernarg_segment_align: 8
    .kernarg_segment_size: 440
    .language:       OpenCL C
    .language_version:
      - 2
      - 0
    .max_flat_workgroup_size: 256
    .name:           _ZN2at6native12_GLOBAL__N_116_elemwise_kernelILi256ELi4EZNS1_43_compute_linear_combination_internal_kernelIsEEvRNS_14TensorIteratorEiiiEUliE_EEviT1_
    .private_segment_fixed_size: 0
    .sgpr_count:     48
    .sgpr_spill_count: 0
    .symbol:         _ZN2at6native12_GLOBAL__N_116_elemwise_kernelILi256ELi4EZNS1_43_compute_linear_combination_internal_kernelIsEEvRNS_14TensorIteratorEiiiEUliE_EEviT1_.kd
    .uniform_work_group_size: 1
    .uses_dynamic_stack: false
    .vgpr_count:     12
    .vgpr_spill_count: 0
    .wavefront_size: 32
    .workgroup_processor_mode: 1
  - .args:
      - .offset:         0
        .size:           4
        .value_kind:     by_value
      - .offset:         8
        .size:           432
        .value_kind:     by_value
    .group_segment_fixed_size: 0
    .kernarg_segment_align: 8
    .kernarg_segment_size: 440
    .language:       OpenCL C
    .language_version:
      - 2
      - 0
    .max_flat_workgroup_size: 256
    .name:           _ZN2at6native12_GLOBAL__N_116_elemwise_kernelILi256ELi4EZNS1_43_compute_linear_combination_internal_kernelIdEEvRNS_14TensorIteratorEiiiEUliE_EEviT1_
    .private_segment_fixed_size: 0
    .sgpr_count:     48
    .sgpr_spill_count: 0
    .symbol:         _ZN2at6native12_GLOBAL__N_116_elemwise_kernelILi256ELi4EZNS1_43_compute_linear_combination_internal_kernelIdEEvRNS_14TensorIteratorEiiiEUliE_EEviT1_.kd
    .uniform_work_group_size: 1
    .uses_dynamic_stack: false
    .vgpr_count:     15
    .vgpr_spill_count: 0
    .wavefront_size: 32
    .workgroup_processor_mode: 1
  - .args:
      - .offset:         0
        .size:           4
        .value_kind:     by_value
      - .offset:         8
        .size:           432
        .value_kind:     by_value
    .group_segment_fixed_size: 0
    .kernarg_segment_align: 8
    .kernarg_segment_size: 440
    .language:       OpenCL C
    .language_version:
      - 2
      - 0
    .max_flat_workgroup_size: 256
    .name:           _ZN2at6native12_GLOBAL__N_116_elemwise_kernelILi256ELi4EZNS1_43_compute_linear_combination_internal_kernelIfEEvRNS_14TensorIteratorEiiiEUliE_EEviT1_
    .private_segment_fixed_size: 0
    .sgpr_count:     48
    .sgpr_spill_count: 0
    .symbol:         _ZN2at6native12_GLOBAL__N_116_elemwise_kernelILi256ELi4EZNS1_43_compute_linear_combination_internal_kernelIfEEvRNS_14TensorIteratorEiiiEUliE_EEviT1_.kd
    .uniform_work_group_size: 1
    .uses_dynamic_stack: false
    .vgpr_count:     12
    .vgpr_spill_count: 0
    .wavefront_size: 32
    .workgroup_processor_mode: 1
  - .args:
      - .offset:         0
        .size:           4
        .value_kind:     by_value
      - .offset:         8
        .size:           432
        .value_kind:     by_value
    .group_segment_fixed_size: 0
    .kernarg_segment_align: 8
    .kernarg_segment_size: 440
    .language:       OpenCL C
    .language_version:
      - 2
      - 0
    .max_flat_workgroup_size: 256
    .name:           _ZN2at6native12_GLOBAL__N_116_elemwise_kernelILi256ELi4EZNS1_43_compute_linear_combination_internal_kernelIN3c107complexIdEEEEvRNS_14TensorIteratorEiiiEUliE_EEviT1_
    .private_segment_fixed_size: 0
    .sgpr_count:     48
    .sgpr_spill_count: 0
    .symbol:         _ZN2at6native12_GLOBAL__N_116_elemwise_kernelILi256ELi4EZNS1_43_compute_linear_combination_internal_kernelIN3c107complexIdEEEEvRNS_14TensorIteratorEiiiEUliE_EEviT1_.kd
    .uniform_work_group_size: 1
    .uses_dynamic_stack: false
    .vgpr_count:     18
    .vgpr_spill_count: 0
    .wavefront_size: 32
    .workgroup_processor_mode: 1
  - .args:
      - .offset:         0
        .size:           4
        .value_kind:     by_value
      - .offset:         8
        .size:           432
        .value_kind:     by_value
    .group_segment_fixed_size: 0
    .kernarg_segment_align: 8
    .kernarg_segment_size: 440
    .language:       OpenCL C
    .language_version:
      - 2
      - 0
    .max_flat_workgroup_size: 256
    .name:           _ZN2at6native12_GLOBAL__N_116_elemwise_kernelILi256ELi4EZNS1_43_compute_linear_combination_internal_kernelIN3c107complexIfEEEEvRNS_14TensorIteratorEiiiEUliE_EEviT1_
    .private_segment_fixed_size: 0
    .sgpr_count:     48
    .sgpr_spill_count: 0
    .symbol:         _ZN2at6native12_GLOBAL__N_116_elemwise_kernelILi256ELi4EZNS1_43_compute_linear_combination_internal_kernelIN3c107complexIfEEEEvRNS_14TensorIteratorEiiiEUliE_EEviT1_.kd
    .uniform_work_group_size: 1
    .uses_dynamic_stack: false
    .vgpr_count:     13
    .vgpr_spill_count: 0
    .wavefront_size: 32
    .workgroup_processor_mode: 1
  - .args:
      - .offset:         0
        .size:           4
        .value_kind:     by_value
      - .offset:         8
        .size:           432
        .value_kind:     by_value
    .group_segment_fixed_size: 0
    .kernarg_segment_align: 8
    .kernarg_segment_size: 440
    .language:       OpenCL C
    .language_version:
      - 2
      - 0
    .max_flat_workgroup_size: 256
    .name:           _ZN2at6native12_GLOBAL__N_116_elemwise_kernelILi256ELi4EZNS1_43_compute_linear_combination_internal_kernelIN3c104HalfEEEvRNS_14TensorIteratorEiiiEUliE_EEviT1_
    .private_segment_fixed_size: 0
    .sgpr_count:     48
    .sgpr_spill_count: 0
    .symbol:         _ZN2at6native12_GLOBAL__N_116_elemwise_kernelILi256ELi4EZNS1_43_compute_linear_combination_internal_kernelIN3c104HalfEEEvRNS_14TensorIteratorEiiiEUliE_EEviT1_.kd
    .uniform_work_group_size: 1
    .uses_dynamic_stack: false
    .vgpr_count:     12
    .vgpr_spill_count: 0
    .wavefront_size: 32
    .workgroup_processor_mode: 1
  - .args:
      - .offset:         0
        .size:           4
        .value_kind:     by_value
      - .offset:         8
        .size:           432
        .value_kind:     by_value
    .group_segment_fixed_size: 0
    .kernarg_segment_align: 8
    .kernarg_segment_size: 440
    .language:       OpenCL C
    .language_version:
      - 2
      - 0
    .max_flat_workgroup_size: 256
    .name:           _ZN2at6native12_GLOBAL__N_116_elemwise_kernelILi256ELi4EZNS1_43_compute_linear_combination_internal_kernelIbEEvRNS_14TensorIteratorEiiiEUliE_EEviT1_
    .private_segment_fixed_size: 0
    .sgpr_count:     46
    .sgpr_spill_count: 0
    .symbol:         _ZN2at6native12_GLOBAL__N_116_elemwise_kernelILi256ELi4EZNS1_43_compute_linear_combination_internal_kernelIbEEvRNS_14TensorIteratorEiiiEUliE_EEviT1_.kd
    .uniform_work_group_size: 1
    .uses_dynamic_stack: false
    .vgpr_count:     12
    .vgpr_spill_count: 0
    .wavefront_size: 32
    .workgroup_processor_mode: 1
  - .args:
      - .offset:         0
        .size:           4
        .value_kind:     by_value
      - .offset:         8
        .size:           432
        .value_kind:     by_value
    .group_segment_fixed_size: 0
    .kernarg_segment_align: 8
    .kernarg_segment_size: 440
    .language:       OpenCL C
    .language_version:
      - 2
      - 0
    .max_flat_workgroup_size: 256
    .name:           _ZN2at6native12_GLOBAL__N_116_elemwise_kernelILi256ELi4EZNS1_43_compute_linear_combination_internal_kernelIN3c108BFloat16EEEvRNS_14TensorIteratorEiiiEUliE_EEviT1_
    .private_segment_fixed_size: 0
    .sgpr_count:     46
    .sgpr_spill_count: 0
    .symbol:         _ZN2at6native12_GLOBAL__N_116_elemwise_kernelILi256ELi4EZNS1_43_compute_linear_combination_internal_kernelIN3c108BFloat16EEEvRNS_14TensorIteratorEiiiEUliE_EEviT1_.kd
    .uniform_work_group_size: 1
    .uses_dynamic_stack: false
    .vgpr_count:     12
    .vgpr_spill_count: 0
    .wavefront_size: 32
    .workgroup_processor_mode: 1
amdhsa.target:   amdgcn-amd-amdhsa--gfx1100
amdhsa.version:
  - 1
  - 2
...

	.end_amdgpu_metadata
